;; amdgpu-corpus repo=vllm-project/vllm kind=triton arch=gfx950 opt=O3 lang=triton
	.amdgcn_target "amdgcn-amd-amdhsa--gfx950"
	.amdhsa_code_object_version 5
	.text
	.globl	_w8a8_triton_block_scaled_mm    ; -- Begin function _w8a8_triton_block_scaled_mm
	.p2align	8
	.type	_w8a8_triton_block_scaled_mm,@function
_w8a8_triton_block_scaled_mm:           ; @_w8a8_triton_block_scaled_mm
.Lfunc_begin0:
	.cfi_sections .debug_frame
	.cfi_startproc
; %bb.562:
	.file	1 "/root/src/amdgpu-assembly/repos/vllm-project__vllm/triton_aot_kernels" "fp8_utils_aot.py"
	.loc	1 8 0 prologue_end              ; fp8_utils_aot.py:8:0
	s_load_dwordx2 s[2:3], s[0:1], 0x0
	s_load_dwordx8 s[4:11], s[0:1], 0x8
	s_load_dwordx4 s[12:15], s[0:1], 0x28
	s_waitcnt lgkmcnt(0)
	s_branch .LBB0_0
	.loc	1 0 0 is_stmt 0                 ; :0:0
.Ltmp0:
	.p2align	8
; %bb.563:
.LBB0_0:
                                        ; implicit-def: $vgpr255 : SGPR spill to VGPR lane
.Ltmp1:
	.loc	1 48 22 is_stmt 1               ; fp8_utils_aot.py:48:22
	s_abs_i32 s21, s16
	v_writelane_b32 v255, s6, 0
	.loc	1 67 20                         ; fp8_utils_aot.py:67:20
	v_readfirstlane_b32 s25, v0
	.loc	1 48 22                         ; fp8_utils_aot.py:48:22
	s_ashr_i32 s20, s16, 31
	v_writelane_b32 v255, s7, 1
.Ltmp2:
	.file	2 "/root/.local/lib/python3.13/site-packages/triton/language" "standard.py"
	.loc	2 43 17                         ; standard.py:43:17 @[ fp8_utils_aot.py:46:27 ]
	s_add_i32 s7, s13, 0x7f
	.loc	2 43 30 is_stmt 0               ; standard.py:43:30 @[ fp8_utils_aot.py:46:27 ]
	s_ashr_i32 s17, s7, 31
	s_lshr_b32 s17, s17, 25
	s_add_i32 s7, s7, s17
	s_ashr_i32 s17, s7, 7
.Ltmp3:
	.loc	1 47 38 is_stmt 1               ; fp8_utils_aot.py:47:38
	s_lshl_b32 s17, s17, 3
	.loc	1 48 22                         ; fp8_utils_aot.py:48:22
	s_abs_i32 s24, s17
	v_cvt_f32_u32_e32 v1, s24
.Ltmp4:
	.loc	2 43 17                         ; standard.py:43:17 @[ fp8_utils_aot.py:45:27 ]
	s_add_i32 s6, s12, 63
	.loc	2 43 30 is_stmt 0               ; standard.py:43:30 @[ fp8_utils_aot.py:45:27 ]
	s_ashr_i32 s18, s6, 31
	s_lshr_b32 s18, s18, 26
.Ltmp5:
	.loc	1 48 22 is_stmt 1               ; fp8_utils_aot.py:48:22
	v_rcp_iflag_f32_e32 v1, v1
.Ltmp6:
	.loc	2 43 30                         ; standard.py:43:30 @[ fp8_utils_aot.py:45:27 ]
	s_add_i32 s6, s6, s18
.Ltmp7:
	.loc	1 48 22                         ; fp8_utils_aot.py:48:22
	s_sub_i32 s18, 0, s24
	s_ashr_i32 s7, s7, 31
	v_mul_f32_e32 v1, 0x4f7ffffe, v1
	v_cvt_u32_f32_e32 v1, v1
	.loc	1 89 21                         ; fp8_utils_aot.py:89:21
	s_and_b32 s26, s25, 0xc0
.Ltmp8:
	.loc	2 43 30                         ; standard.py:43:30 @[ fp8_utils_aot.py:45:27 ]
	s_ashr_i32 s6, s6, 6
.Ltmp9:
	.loc	1 48 22                         ; fp8_utils_aot.py:48:22
	s_xor_b32 s7, s20, s7
	v_readfirstlane_b32 s19, v1
	s_mul_i32 s18, s18, s19
	s_mul_hi_u32 s18, s19, s18
	s_add_i32 s19, s19, s18
	s_mul_hi_u32 s18, s21, s19
	s_mul_i32 s19, s18, s24
	s_sub_i32 s19, s21, s19
	s_add_i32 s22, s18, 1
	s_sub_i32 s23, s19, s24
	s_cmp_ge_u32 s19, s24
	s_cselect_b32 s18, s22, s18
	s_cselect_b32 s19, s23, s19
	s_add_i32 s22, s18, 1
	s_cmp_ge_u32 s19, s24
	s_cselect_b32 s18, s22, s18
	s_xor_b32 s18, s18, s7
	s_sub_i32 s7, s18, s7
	.loc	1 49 29                         ; fp8_utils_aot.py:49:29
	s_lshl_b32 s22, s7, 3
	.loc	1 50 35                         ; fp8_utils_aot.py:50:35
	s_sub_i32 s6, s6, s22
	.loc	1 50 48 is_stmt 0               ; fp8_utils_aot.py:50:48
	s_min_i32 s66, s6, 8
	.loc	1 51 33 is_stmt 1               ; fp8_utils_aot.py:51:33
	s_abs_i32 s6, s66
	v_cvt_f32_u32_e32 v1, s6
	s_sub_i32 s23, 0, s6
	.loc	1 52 19                         ; fp8_utils_aot.py:52:19
	s_mul_i32 s7, s7, s17
	v_writelane_b32 v255, s25, 2
	.loc	1 51 33                         ; fp8_utils_aot.py:51:33
	v_rcp_iflag_f32_e32 v1, v1
	s_load_dwordx2 s[18:19], s[0:1], 0x3c
	v_writelane_b32 v255, s12, 3
	v_mov_b32_e32 v60, 0
	v_mul_f32_e32 v1, 0x4f7ffffe, v1
	v_cvt_u32_f32_e32 v1, v1
	v_mov_b32_e32 v61, 0
	v_readfirstlane_b32 s24, v1
	s_mul_i32 s23, s23, s24
	s_mul_hi_u32 s23, s24, s23
	s_add_i32 s23, s24, s23
	s_mul_hi_u32 s24, s21, s23
	s_mul_i32 s24, s24, s6
	s_sub_i32 s21, s21, s24
	s_sub_i32 s24, s21, s6
	s_cmp_ge_u32 s21, s6
	s_cselect_b32 s21, s24, s21
	s_sub_i32 s24, s21, s6
	s_cmp_ge_u32 s21, s6
	s_cselect_b32 s21, s24, s21
	.loc	1 52 19                         ; fp8_utils_aot.py:52:19
	s_sub_i32 s24, s16, s7
	.loc	1 52 40 is_stmt 0               ; fp8_utils_aot.py:52:40
	s_abs_i32 s7, s24
	s_mul_hi_u32 s16, s7, s23
	.loc	1 51 33 is_stmt 1               ; fp8_utils_aot.py:51:33
	s_xor_b32 s21, s21, s20
	.loc	1 52 40                         ; fp8_utils_aot.py:52:40
	s_mul_i32 s17, s16, s6
	.loc	1 51 33                         ; fp8_utils_aot.py:51:33
	s_sub_i32 s20, s21, s20
	.loc	1 52 40                         ; fp8_utils_aot.py:52:40
	s_sub_i32 s7, s7, s17
	.loc	1 51 27                         ; fp8_utils_aot.py:51:27
	s_add_i32 s22, s22, s20
	.loc	1 52 40                         ; fp8_utils_aot.py:52:40
	s_add_i32 s17, s16, 1
	s_sub_i32 s20, s7, s6
	s_cmp_ge_u32 s7, s6
	s_cselect_b32 s16, s17, s16
	s_cselect_b32 s7, s20, s7
	s_add_i32 s17, s16, 1
	s_cmp_ge_u32 s7, s6
	s_cselect_b32 s6, s17, s16
	.loc	1 54 68                         ; fp8_utils_aot.py:54:68
	s_abs_i32 s27, s12
	v_cvt_f32_u32_e32 v2, s27
	.loc	1 54 23 is_stmt 0               ; fp8_utils_aot.py:54:23
	s_lshl_b32 s7, s22, 6
	.loc	1 54 51                         ; fp8_utils_aot.py:54:51
	s_bfe_u32 s28, s25, 0x10007
	.loc	1 54 68                         ; fp8_utils_aot.py:54:68
	s_bfe_i32 s97, s22, 0x10019
	v_rcp_iflag_f32_e32 v2, v2
	s_sub_i32 s22, 0, s27
	.loc	1 54 38                         ; fp8_utils_aot.py:54:38
	s_or_b32 s16, s7, s28
	.loc	1 54 68                         ; fp8_utils_aot.py:54:68
	s_add_i32 s16, s16, s97
	v_mul_f32_e32 v2, 0x4f7ffffe, v2
	v_cvt_u32_f32_e32 v2, v2
	s_xor_b32 s16, s16, s97
	.loc	1 54 51                         ; fp8_utils_aot.py:54:51
	s_or_b32 s29, s28, 2
	s_or_b32 s30, s28, 4
	.loc	1 54 68                         ; fp8_utils_aot.py:54:68
	v_readfirstlane_b32 s40, v2
	s_mul_i32 s22, s22, s40
	s_mul_hi_u32 s22, s40, s22
	s_add_i32 s40, s40, s22
	s_mul_hi_u32 s22, s16, s40
	s_mul_i32 s22, s22, s27
	.loc	1 54 51                         ; fp8_utils_aot.py:54:51
	s_or_b32 s31, s28, 6
	s_or_b32 s33, s28, 8
	.loc	1 54 68                         ; fp8_utils_aot.py:54:68
	s_sub_i32 s16, s16, s22
	.loc	1 54 51                         ; fp8_utils_aot.py:54:51
	s_or_b32 s34, s28, 10
	.loc	1 54 38                         ; fp8_utils_aot.py:54:38
	s_or_b32 s17, s7, s29
	s_or_b32 s20, s7, s30
	;; [unrolled: 1-line block ×4, first 2 shown]
	.loc	1 54 68                         ; fp8_utils_aot.py:54:68
	s_sub_i32 s22, s16, s27
	s_cmp_ge_u32 s16, s27
	s_cselect_b32 s16, s22, s16
	s_sub_i32 s22, s16, s27
	s_cmp_ge_u32 s16, s27
	s_cselect_b32 s16, s22, s16
	s_xor_b32 s16, s16, s97
	.loc	1 54 51                         ; fp8_utils_aot.py:54:51
	v_and_b32_e32 v1, 63, v0
	.loc	1 54 68                         ; fp8_utils_aot.py:54:68
	s_sub_i32 s16, s16, s97
	s_abs_i32 s36, s17
	s_abs_i32 s37, s20
	;; [unrolled: 1-line block ×3, first 2 shown]
	.loc	1 55 51 is_stmt 1               ; fp8_utils_aot.py:55:51
	v_mov_b32_e32 v2, 0x7f
.Ltmp10:
	.loc	2 43 17                         ; standard.py:43:17 @[ fp8_utils_aot.py:65:33 ]
	s_add_i32 s87, s14, 0x7f
.Ltmp11:
	.loc	1 55 51                         ; fp8_utils_aot.py:55:51
	v_bitop3_b32 v73, s26, v2, v1 bitop3:0xc8
	.loc	1 65 22                         ; fp8_utils_aot.py:65:22
	s_cmpk_gt_i32 s87, 0x7f
	.loc	1 57 37                         ; fp8_utils_aot.py:57:37
	s_waitcnt lgkmcnt(0)
	s_mul_i32 s70, s16, s18
	.loc	1 65 22                         ; fp8_utils_aot.py:65:22
	s_cselect_b64 s[16:17], -1, 0
	.loc	1 66 51                         ; fp8_utils_aot.py:66:51
	v_cmp_gt_i32_e32 vcc, s14, v73
	.loc	1 54 68                         ; fp8_utils_aot.py:54:68
	s_mul_hi_u32 s43, s36, s40
	s_mul_hi_u32 s42, s37, s40
	.loc	1 57 67                         ; fp8_utils_aot.py:57:67
	v_mul_lo_u32 v4, v73, s19
	.loc	1 65 22                         ; fp8_utils_aot.py:65:22
	s_and_b64 s[20:21], s[16:17], vcc
	.loc	1 66 20                         ; fp8_utils_aot.py:66:20
	s_and_saveexec_b64 s[22:23], s[20:21]
	s_cbranch_execz .LBB0_2
; %bb.1:
	.loc	1 57 49                         ; fp8_utils_aot.py:57:49
	v_add_u32_e32 v2, s70, v4
	.loc	1 57 18 is_stmt 0               ; fp8_utils_aot.py:57:18
	v_ashrrev_i32_e32 v3, 31, v2
	v_lshl_add_u64 v[2:3], s[2:3], 0, v[2:3]
	.loc	1 66 20 is_stmt 1               ; fp8_utils_aot.py:66:20
	global_load_ubyte v61, v[2:3], off
.LBB0_2:
	.loc	1 0 20 is_stmt 0                ; fp8_utils_aot.py:0:20
	s_or_b64 exec, exec, s[22:23]
	.loc	1 54 68 is_stmt 1               ; fp8_utils_aot.py:54:68
	s_mul_i32 s43, s43, s27
	s_sub_i32 s22, s36, s43
	.loc	1 0 0 is_stmt 0                 ; fp8_utils_aot.py:0
	s_or_b32 s35, s28, 12
	s_or_b32 s44, s7, s34
	s_abs_i32 s39, s25
	.loc	1 54 68                         ; fp8_utils_aot.py:54:68
	s_sub_i32 s23, s22, s27
	s_cmp_ge_u32 s22, s27
	s_cselect_b32 s22, s23, s22
	s_sub_i32 s23, s22, s27
	s_cmp_ge_u32 s22, s27
	s_cselect_b32 s22, s23, s22
	s_xor_b32 s22, s22, s97
	s_sub_i32 s22, s22, s97
	.loc	1 0 0                           ; fp8_utils_aot.py:0
	s_mul_hi_u32 s41, s38, s40
	.loc	1 57 37 is_stmt 1               ; fp8_utils_aot.py:57:37
	s_mul_i32 s73, s22, s18
	.loc	1 66 20                         ; fp8_utils_aot.py:66:20
	s_and_saveexec_b64 s[22:23], s[20:21]
	s_cbranch_execz .LBB0_4
; %bb.3:
	.loc	1 57 49                         ; fp8_utils_aot.py:57:49
	v_add_u32_e32 v2, s73, v4
	.loc	1 57 18 is_stmt 0               ; fp8_utils_aot.py:57:18
	v_ashrrev_i32_e32 v3, 31, v2
	v_lshl_add_u64 v[2:3], s[2:3], 0, v[2:3]
	.loc	1 66 20 is_stmt 1               ; fp8_utils_aot.py:66:20
	global_load_ubyte v60, v[2:3], off
.LBB0_4:
	.loc	1 0 20 is_stmt 0                ; fp8_utils_aot.py:0:20
	s_or_b64 exec, exec, s[22:23]
	.loc	1 54 68 is_stmt 1               ; fp8_utils_aot.py:54:68
	s_mul_i32 s42, s42, s27
	s_sub_i32 s22, s37, s42
	.loc	1 0 0 is_stmt 0                 ; fp8_utils_aot.py:0
	s_or_b32 s36, s28, 14
	s_or_b32 s43, s7, s35
	s_abs_i32 s25, s44
	.loc	1 54 68                         ; fp8_utils_aot.py:54:68
	s_sub_i32 s23, s22, s27
	s_cmp_ge_u32 s22, s27
	s_cselect_b32 s22, s23, s22
	s_sub_i32 s23, s22, s27
	s_cmp_ge_u32 s22, s27
	s_cselect_b32 s22, s23, s22
	s_xor_b32 s22, s22, s97
	s_sub_i32 s22, s22, s97
	.loc	1 0 0                           ; fp8_utils_aot.py:0
	s_mul_hi_u32 s44, s39, s40
	.loc	1 57 37 is_stmt 1               ; fp8_utils_aot.py:57:37
	s_mul_i32 s74, s22, s18
	v_mov_b32_e32 v62, 0
	v_mov_b32_e32 v63, 0
	.loc	1 66 20                         ; fp8_utils_aot.py:66:20
	s_and_saveexec_b64 s[22:23], s[20:21]
	s_cbranch_execz .LBB0_6
; %bb.5:
	.loc	1 57 49                         ; fp8_utils_aot.py:57:49
	v_add_u32_e32 v2, s74, v4
	.loc	1 57 18 is_stmt 0               ; fp8_utils_aot.py:57:18
	v_ashrrev_i32_e32 v3, 31, v2
	v_lshl_add_u64 v[2:3], s[2:3], 0, v[2:3]
	.loc	1 66 20 is_stmt 1               ; fp8_utils_aot.py:66:20
	global_load_ubyte v63, v[2:3], off
.LBB0_6:
	.loc	1 0 20 is_stmt 0                ; fp8_utils_aot.py:0:20
	s_or_b64 exec, exec, s[22:23]
	.loc	1 54 68 is_stmt 1               ; fp8_utils_aot.py:54:68
	s_mul_i32 s41, s41, s27
	s_sub_i32 s22, s38, s41
	.loc	1 0 0 is_stmt 0                 ; fp8_utils_aot.py:0
	s_or_b32 s37, s28, 16
	s_or_b32 s46, s7, s36
	s_abs_i32 s42, s43
	.loc	1 54 68                         ; fp8_utils_aot.py:54:68
	s_sub_i32 s23, s22, s27
	s_cmp_ge_u32 s22, s27
	s_cselect_b32 s22, s23, s22
	s_sub_i32 s23, s22, s27
	s_cmp_ge_u32 s22, s27
	s_cselect_b32 s22, s23, s22
	s_xor_b32 s22, s22, s97
	s_sub_i32 s22, s22, s97
	.loc	1 0 0                           ; fp8_utils_aot.py:0
	s_mul_hi_u32 s45, s25, s40
	.loc	1 57 37 is_stmt 1               ; fp8_utils_aot.py:57:37
	s_mul_i32 s76, s22, s18
	.loc	1 66 20                         ; fp8_utils_aot.py:66:20
	s_and_saveexec_b64 s[22:23], s[20:21]
	s_cbranch_execz .LBB0_8
; %bb.7:
	.loc	1 57 49                         ; fp8_utils_aot.py:57:49
	v_add_u32_e32 v2, s76, v4
	.loc	1 57 18 is_stmt 0               ; fp8_utils_aot.py:57:18
	v_ashrrev_i32_e32 v3, 31, v2
	v_lshl_add_u64 v[2:3], s[2:3], 0, v[2:3]
	.loc	1 66 20 is_stmt 1               ; fp8_utils_aot.py:66:20
	global_load_ubyte v62, v[2:3], off
.LBB0_8:
	.loc	1 0 20 is_stmt 0                ; fp8_utils_aot.py:0:20
	s_or_b64 exec, exec, s[22:23]
	.loc	1 54 68 is_stmt 1               ; fp8_utils_aot.py:54:68
	s_mul_i32 s44, s44, s27
	s_sub_i32 s22, s39, s44
	.loc	1 0 0 is_stmt 0                 ; fp8_utils_aot.py:0
	s_or_b32 s38, s28, 18
	s_or_b32 s41, s7, s37
	s_abs_i32 s43, s46
	.loc	1 54 68                         ; fp8_utils_aot.py:54:68
	s_sub_i32 s23, s22, s27
	s_cmp_ge_u32 s22, s27
	s_cselect_b32 s22, s23, s22
	s_sub_i32 s23, s22, s27
	s_cmp_ge_u32 s22, s27
	s_cselect_b32 s22, s23, s22
	s_xor_b32 s22, s22, s97
	s_sub_i32 s22, s22, s97
	.loc	1 0 0                           ; fp8_utils_aot.py:0
	s_mul_hi_u32 s46, s42, s40
	.loc	1 57 37 is_stmt 1               ; fp8_utils_aot.py:57:37
	s_mul_i32 s77, s22, s18
	v_mov_b32_e32 v64, 0
	v_mov_b32_e32 v65, 0
	.loc	1 66 20                         ; fp8_utils_aot.py:66:20
	s_and_saveexec_b64 s[22:23], s[20:21]
	s_cbranch_execz .LBB0_10
; %bb.9:
	.loc	1 57 49                         ; fp8_utils_aot.py:57:49
	v_add_u32_e32 v2, s77, v4
	.loc	1 57 18 is_stmt 0               ; fp8_utils_aot.py:57:18
	v_ashrrev_i32_e32 v3, 31, v2
	v_lshl_add_u64 v[2:3], s[2:3], 0, v[2:3]
	.loc	1 66 20 is_stmt 1               ; fp8_utils_aot.py:66:20
	global_load_ubyte v65, v[2:3], off
.LBB0_10:
	.loc	1 0 20 is_stmt 0                ; fp8_utils_aot.py:0:20
	s_or_b64 exec, exec, s[22:23]
	.loc	1 54 68 is_stmt 1               ; fp8_utils_aot.py:54:68
	s_mul_i32 s45, s45, s27
	s_sub_i32 s22, s25, s45
	.loc	1 0 0 is_stmt 0                 ; fp8_utils_aot.py:0
	s_or_b32 s39, s28, 20
	s_or_b32 s49, s7, s38
	s_abs_i32 s44, s41
	.loc	1 54 68                         ; fp8_utils_aot.py:54:68
	s_sub_i32 s23, s22, s27
	s_cmp_ge_u32 s22, s27
	s_cselect_b32 s22, s23, s22
	s_sub_i32 s23, s22, s27
	s_cmp_ge_u32 s22, s27
	s_cselect_b32 s22, s23, s22
	s_xor_b32 s22, s22, s97
	s_sub_i32 s22, s22, s97
	.loc	1 0 0                           ; fp8_utils_aot.py:0
	s_mul_hi_u32 s47, s43, s40
	.loc	1 57 37 is_stmt 1               ; fp8_utils_aot.py:57:37
	s_mul_i32 s79, s22, s18
	.loc	1 66 20                         ; fp8_utils_aot.py:66:20
	s_and_saveexec_b64 s[22:23], s[20:21]
	s_cbranch_execz .LBB0_12
; %bb.11:
	.loc	1 57 49                         ; fp8_utils_aot.py:57:49
	v_add_u32_e32 v2, s79, v4
	.loc	1 57 18 is_stmt 0               ; fp8_utils_aot.py:57:18
	v_ashrrev_i32_e32 v3, 31, v2
	v_lshl_add_u64 v[2:3], s[2:3], 0, v[2:3]
	.loc	1 66 20 is_stmt 1               ; fp8_utils_aot.py:66:20
	global_load_ubyte v64, v[2:3], off
.LBB0_12:
	.loc	1 0 20 is_stmt 0                ; fp8_utils_aot.py:0:20
	s_or_b64 exec, exec, s[22:23]
	.loc	1 54 68 is_stmt 1               ; fp8_utils_aot.py:54:68
	s_mul_i32 s46, s46, s27
	s_sub_i32 s22, s42, s46
	.loc	1 0 0 is_stmt 0                 ; fp8_utils_aot.py:0
	s_or_b32 s41, s28, 22
	s_or_b32 s48, s7, s39
	s_abs_i32 s25, s49
	.loc	1 54 68                         ; fp8_utils_aot.py:54:68
	s_sub_i32 s23, s22, s27
	s_cmp_ge_u32 s22, s27
	s_cselect_b32 s22, s23, s22
	s_sub_i32 s23, s22, s27
	s_cmp_ge_u32 s22, s27
	s_cselect_b32 s22, s23, s22
	s_xor_b32 s22, s22, s97
	s_sub_i32 s22, s22, s97
	.loc	1 0 0                           ; fp8_utils_aot.py:0
	s_mul_hi_u32 s45, s44, s40
	.loc	1 57 37 is_stmt 1               ; fp8_utils_aot.py:57:37
	s_mul_i32 s80, s22, s18
	v_mov_b32_e32 v66, 0
	v_mov_b32_e32 v67, 0
	.loc	1 66 20                         ; fp8_utils_aot.py:66:20
	s_and_saveexec_b64 s[22:23], s[20:21]
	s_cbranch_execz .LBB0_14
; %bb.13:
	.loc	1 57 49                         ; fp8_utils_aot.py:57:49
	v_add_u32_e32 v2, s80, v4
	.loc	1 57 18 is_stmt 0               ; fp8_utils_aot.py:57:18
	v_ashrrev_i32_e32 v3, 31, v2
	v_lshl_add_u64 v[2:3], s[2:3], 0, v[2:3]
	.loc	1 66 20 is_stmt 1               ; fp8_utils_aot.py:66:20
	global_load_ubyte v67, v[2:3], off
.LBB0_14:
	.loc	1 0 20 is_stmt 0                ; fp8_utils_aot.py:0:20
	s_or_b64 exec, exec, s[22:23]
	.loc	1 54 68 is_stmt 1               ; fp8_utils_aot.py:54:68
	s_mul_i32 s47, s47, s27
	s_sub_i32 s22, s43, s47
	.loc	1 0 0 is_stmt 0                 ; fp8_utils_aot.py:0
	s_or_b32 s42, s28, 24
	s_or_b32 s50, s7, s41
	s_abs_i32 s46, s48
	.loc	1 54 68                         ; fp8_utils_aot.py:54:68
	s_sub_i32 s23, s22, s27
	s_cmp_ge_u32 s22, s27
	s_cselect_b32 s22, s23, s22
	s_sub_i32 s23, s22, s27
	s_cmp_ge_u32 s22, s27
	s_cselect_b32 s22, s23, s22
	s_xor_b32 s22, s22, s97
	s_sub_i32 s22, s22, s97
	.loc	1 0 0                           ; fp8_utils_aot.py:0
	s_mul_hi_u32 s49, s25, s40
	.loc	1 57 37 is_stmt 1               ; fp8_utils_aot.py:57:37
	s_mul_i32 s81, s22, s18
	.loc	1 66 20                         ; fp8_utils_aot.py:66:20
	s_and_saveexec_b64 s[22:23], s[20:21]
	s_cbranch_execz .LBB0_16
; %bb.15:
	.loc	1 57 49                         ; fp8_utils_aot.py:57:49
	v_add_u32_e32 v2, s81, v4
	.loc	1 57 18 is_stmt 0               ; fp8_utils_aot.py:57:18
	v_ashrrev_i32_e32 v3, 31, v2
	v_lshl_add_u64 v[2:3], s[2:3], 0, v[2:3]
	.loc	1 66 20 is_stmt 1               ; fp8_utils_aot.py:66:20
	global_load_ubyte v66, v[2:3], off
.LBB0_16:
	.loc	1 0 20 is_stmt 0                ; fp8_utils_aot.py:0:20
	s_or_b64 exec, exec, s[22:23]
	.loc	1 54 68 is_stmt 1               ; fp8_utils_aot.py:54:68
	s_mul_i32 s45, s45, s27
	s_sub_i32 s22, s44, s45
	.loc	1 0 0 is_stmt 0                 ; fp8_utils_aot.py:0
	s_or_b32 s43, s28, 26
	s_or_b32 s48, s7, s42
	s_abs_i32 s47, s50
	.loc	1 54 68                         ; fp8_utils_aot.py:54:68
	s_sub_i32 s23, s22, s27
	s_cmp_ge_u32 s22, s27
	s_cselect_b32 s22, s23, s22
	s_sub_i32 s23, s22, s27
	s_cmp_ge_u32 s22, s27
	s_cselect_b32 s22, s23, s22
	s_xor_b32 s22, s22, s97
	s_sub_i32 s22, s22, s97
	.loc	1 0 0                           ; fp8_utils_aot.py:0
	s_mul_hi_u32 s50, s46, s40
	.loc	1 57 37 is_stmt 1               ; fp8_utils_aot.py:57:37
	s_mul_i32 s82, s22, s18
	v_mov_b32_e32 v68, 0
	v_mov_b32_e32 v69, 0
	.loc	1 66 20                         ; fp8_utils_aot.py:66:20
	s_and_saveexec_b64 s[22:23], s[20:21]
	s_cbranch_execz .LBB0_18
; %bb.17:
	.loc	1 57 49                         ; fp8_utils_aot.py:57:49
	v_add_u32_e32 v2, s82, v4
	.loc	1 57 18 is_stmt 0               ; fp8_utils_aot.py:57:18
	v_ashrrev_i32_e32 v3, 31, v2
	v_lshl_add_u64 v[2:3], s[2:3], 0, v[2:3]
	.loc	1 66 20 is_stmt 1               ; fp8_utils_aot.py:66:20
	global_load_ubyte v69, v[2:3], off
.LBB0_18:
	.loc	1 0 20 is_stmt 0                ; fp8_utils_aot.py:0:20
	s_or_b64 exec, exec, s[22:23]
	.loc	1 54 68 is_stmt 1               ; fp8_utils_aot.py:54:68
	s_mul_i32 s49, s49, s27
	s_sub_i32 s22, s25, s49
	.loc	1 0 0 is_stmt 0                 ; fp8_utils_aot.py:0
	s_or_b32 s44, s28, 28
	s_or_b32 s53, s7, s43
	s_abs_i32 s48, s48
	.loc	1 54 68                         ; fp8_utils_aot.py:54:68
	s_sub_i32 s23, s22, s27
	s_cmp_ge_u32 s22, s27
	s_cselect_b32 s22, s23, s22
	s_sub_i32 s23, s22, s27
	s_cmp_ge_u32 s22, s27
	s_cselect_b32 s22, s23, s22
	s_xor_b32 s22, s22, s97
	s_sub_i32 s22, s22, s97
	.loc	1 0 0                           ; fp8_utils_aot.py:0
	s_mul_hi_u32 s51, s47, s40
	.loc	1 57 37 is_stmt 1               ; fp8_utils_aot.py:57:37
	s_mul_i32 s83, s22, s18
	.loc	1 66 20                         ; fp8_utils_aot.py:66:20
	s_and_saveexec_b64 s[22:23], s[20:21]
	s_cbranch_execz .LBB0_20
; %bb.19:
	.loc	1 57 49                         ; fp8_utils_aot.py:57:49
	v_add_u32_e32 v2, s83, v4
	.loc	1 57 18 is_stmt 0               ; fp8_utils_aot.py:57:18
	v_ashrrev_i32_e32 v3, 31, v2
	v_lshl_add_u64 v[2:3], s[2:3], 0, v[2:3]
	.loc	1 66 20 is_stmt 1               ; fp8_utils_aot.py:66:20
	global_load_ubyte v68, v[2:3], off
.LBB0_20:
	.loc	1 0 20 is_stmt 0                ; fp8_utils_aot.py:0:20
	s_or_b64 exec, exec, s[22:23]
	.loc	1 54 68 is_stmt 1               ; fp8_utils_aot.py:54:68
	s_mul_i32 s50, s50, s27
	s_sub_i32 s22, s46, s50
	.loc	1 0 0 is_stmt 0                 ; fp8_utils_aot.py:0
	s_or_b32 s45, s28, 30
	s_or_b32 s52, s7, s44
	s_abs_i32 s25, s53
	.loc	1 54 68                         ; fp8_utils_aot.py:54:68
	s_sub_i32 s23, s22, s27
	s_cmp_ge_u32 s22, s27
	s_cselect_b32 s22, s23, s22
	s_sub_i32 s23, s22, s27
	s_cmp_ge_u32 s22, s27
	s_cselect_b32 s22, s23, s22
	s_xor_b32 s22, s22, s97
	s_sub_i32 s22, s22, s97
	.loc	1 0 0                           ; fp8_utils_aot.py:0
	s_mul_hi_u32 s49, s48, s40
	.loc	1 57 37 is_stmt 1               ; fp8_utils_aot.py:57:37
	s_mul_i32 s84, s22, s18
	v_mov_b32_e32 v70, 0
	v_mov_b32_e32 v71, 0
	.loc	1 66 20                         ; fp8_utils_aot.py:66:20
	s_and_saveexec_b64 s[22:23], s[20:21]
	s_cbranch_execz .LBB0_22
; %bb.21:
	.loc	1 57 49                         ; fp8_utils_aot.py:57:49
	v_add_u32_e32 v2, s84, v4
	.loc	1 57 18 is_stmt 0               ; fp8_utils_aot.py:57:18
	v_ashrrev_i32_e32 v3, 31, v2
	v_lshl_add_u64 v[2:3], s[2:3], 0, v[2:3]
	.loc	1 66 20 is_stmt 1               ; fp8_utils_aot.py:66:20
	global_load_ubyte v71, v[2:3], off
.LBB0_22:
	.loc	1 0 20 is_stmt 0                ; fp8_utils_aot.py:0:20
	s_or_b64 exec, exec, s[22:23]
	.loc	1 54 68 is_stmt 1               ; fp8_utils_aot.py:54:68
	s_mul_i32 s51, s51, s27
	s_sub_i32 s22, s47, s51
	.loc	1 0 0 is_stmt 0                 ; fp8_utils_aot.py:0
	s_or_b32 s46, s28, 32
	s_or_b32 s54, s7, s45
	s_abs_i32 s50, s52
	.loc	1 54 68                         ; fp8_utils_aot.py:54:68
	s_sub_i32 s23, s22, s27
	s_cmp_ge_u32 s22, s27
	s_cselect_b32 s22, s23, s22
	s_sub_i32 s23, s22, s27
	s_cmp_ge_u32 s22, s27
	s_cselect_b32 s22, s23, s22
	s_xor_b32 s22, s22, s97
	s_sub_i32 s22, s22, s97
	.loc	1 0 0                           ; fp8_utils_aot.py:0
	s_mul_hi_u32 s53, s25, s40
	.loc	1 57 37 is_stmt 1               ; fp8_utils_aot.py:57:37
	s_mul_i32 s85, s22, s18
	.loc	1 66 20                         ; fp8_utils_aot.py:66:20
	s_and_saveexec_b64 s[22:23], s[20:21]
	s_cbranch_execz .LBB0_24
; %bb.23:
	.loc	1 57 49                         ; fp8_utils_aot.py:57:49
	v_add_u32_e32 v2, s85, v4
	.loc	1 57 18 is_stmt 0               ; fp8_utils_aot.py:57:18
	v_ashrrev_i32_e32 v3, 31, v2
	v_lshl_add_u64 v[2:3], s[2:3], 0, v[2:3]
	.loc	1 66 20 is_stmt 1               ; fp8_utils_aot.py:66:20
	global_load_ubyte v70, v[2:3], off
.LBB0_24:
	.loc	1 0 20 is_stmt 0                ; fp8_utils_aot.py:0:20
	s_or_b64 exec, exec, s[22:23]
	.loc	1 54 68 is_stmt 1               ; fp8_utils_aot.py:54:68
	s_mul_i32 s49, s49, s27
	s_sub_i32 s22, s48, s49
	.loc	1 0 0 is_stmt 0                 ; fp8_utils_aot.py:0
	s_or_b32 s47, s28, 34
	s_or_b32 s52, s7, s46
	s_abs_i32 s51, s54
	.loc	1 54 68                         ; fp8_utils_aot.py:54:68
	s_sub_i32 s23, s22, s27
	s_cmp_ge_u32 s22, s27
	s_cselect_b32 s22, s23, s22
	s_sub_i32 s23, s22, s27
	s_cmp_ge_u32 s22, s27
	s_cselect_b32 s22, s23, s22
	s_xor_b32 s22, s22, s97
	s_sub_i32 s22, s22, s97
	.loc	1 0 0                           ; fp8_utils_aot.py:0
	s_mul_hi_u32 s54, s50, s40
	.loc	1 57 37 is_stmt 1               ; fp8_utils_aot.py:57:37
	s_mul_i32 s86, s22, s18
	v_mov_b32_e32 v72, 0
	v_mov_b32_e32 v74, 0
	.loc	1 66 20                         ; fp8_utils_aot.py:66:20
	s_and_saveexec_b64 s[22:23], s[20:21]
	s_cbranch_execz .LBB0_26
; %bb.25:
	.loc	1 57 49                         ; fp8_utils_aot.py:57:49
	v_add_u32_e32 v2, s86, v4
	.loc	1 57 18 is_stmt 0               ; fp8_utils_aot.py:57:18
	v_ashrrev_i32_e32 v3, 31, v2
	v_lshl_add_u64 v[2:3], s[2:3], 0, v[2:3]
	.loc	1 66 20 is_stmt 1               ; fp8_utils_aot.py:66:20
	global_load_ubyte v74, v[2:3], off
.LBB0_26:
	.loc	1 0 20 is_stmt 0                ; fp8_utils_aot.py:0:20
	s_or_b64 exec, exec, s[22:23]
	.loc	1 54 68 is_stmt 1               ; fp8_utils_aot.py:54:68
	s_mul_i32 s53, s53, s27
	s_sub_i32 s22, s25, s53
	.loc	1 0 0 is_stmt 0                 ; fp8_utils_aot.py:0
	s_or_b32 s48, s28, 36
	s_or_b32 s57, s7, s47
	s_abs_i32 s52, s52
	.loc	1 54 68                         ; fp8_utils_aot.py:54:68
	s_sub_i32 s23, s22, s27
	s_cmp_ge_u32 s22, s27
	s_cselect_b32 s22, s23, s22
	s_sub_i32 s23, s22, s27
	s_cmp_ge_u32 s22, s27
	s_cselect_b32 s22, s23, s22
	s_xor_b32 s22, s22, s97
	s_sub_i32 s22, s22, s97
	.loc	1 0 0                           ; fp8_utils_aot.py:0
	s_mul_hi_u32 s55, s51, s40
	.loc	1 57 37 is_stmt 1               ; fp8_utils_aot.py:57:37
	s_mul_i32 s71, s22, s18
	.loc	1 66 20                         ; fp8_utils_aot.py:66:20
	s_and_saveexec_b64 s[22:23], s[20:21]
	s_cbranch_execz .LBB0_28
; %bb.27:
	.loc	1 57 49                         ; fp8_utils_aot.py:57:49
	v_add_u32_e32 v2, s71, v4
	.loc	1 57 18 is_stmt 0               ; fp8_utils_aot.py:57:18
	v_ashrrev_i32_e32 v3, 31, v2
	v_lshl_add_u64 v[2:3], s[2:3], 0, v[2:3]
	.loc	1 66 20 is_stmt 1               ; fp8_utils_aot.py:66:20
	global_load_ubyte v72, v[2:3], off
.LBB0_28:
	.loc	1 0 20 is_stmt 0                ; fp8_utils_aot.py:0:20
	s_or_b64 exec, exec, s[22:23]
	.loc	1 54 68 is_stmt 1               ; fp8_utils_aot.py:54:68
	s_mul_i32 s54, s54, s27
	s_sub_i32 s22, s50, s54
	.loc	1 0 0 is_stmt 0                 ; fp8_utils_aot.py:0
	s_or_b32 s49, s28, 38
	s_or_b32 s56, s7, s48
	s_abs_i32 s25, s57
	.loc	1 54 68                         ; fp8_utils_aot.py:54:68
	s_sub_i32 s23, s22, s27
	s_cmp_ge_u32 s22, s27
	s_cselect_b32 s22, s23, s22
	s_sub_i32 s23, s22, s27
	s_cmp_ge_u32 s22, s27
	s_cselect_b32 s22, s23, s22
	s_xor_b32 s22, s22, s97
	s_sub_i32 s22, s22, s97
	.loc	1 0 0                           ; fp8_utils_aot.py:0
	s_mul_hi_u32 s53, s52, s40
	.loc	1 57 37 is_stmt 1               ; fp8_utils_aot.py:57:37
	s_mul_i32 s88, s22, s18
	v_mov_b32_e32 v75, 0
	v_mov_b32_e32 v76, 0
	.loc	1 66 20                         ; fp8_utils_aot.py:66:20
	s_and_saveexec_b64 s[22:23], s[20:21]
	s_cbranch_execz .LBB0_30
; %bb.29:
	.loc	1 57 49                         ; fp8_utils_aot.py:57:49
	v_add_u32_e32 v2, s88, v4
	.loc	1 57 18 is_stmt 0               ; fp8_utils_aot.py:57:18
	v_ashrrev_i32_e32 v3, 31, v2
	v_lshl_add_u64 v[2:3], s[2:3], 0, v[2:3]
	.loc	1 66 20 is_stmt 1               ; fp8_utils_aot.py:66:20
	global_load_ubyte v76, v[2:3], off
.LBB0_30:
	.loc	1 0 20 is_stmt 0                ; fp8_utils_aot.py:0:20
	s_or_b64 exec, exec, s[22:23]
	.loc	1 54 68 is_stmt 1               ; fp8_utils_aot.py:54:68
	s_mul_i32 s55, s55, s27
	s_sub_i32 s22, s51, s55
	.loc	1 0 0 is_stmt 0                 ; fp8_utils_aot.py:0
	s_or_b32 s50, s28, 40
	s_or_b32 s58, s7, s49
	s_abs_i32 s54, s56
	.loc	1 54 68                         ; fp8_utils_aot.py:54:68
	s_sub_i32 s23, s22, s27
	s_cmp_ge_u32 s22, s27
	s_cselect_b32 s22, s23, s22
	s_sub_i32 s23, s22, s27
	s_cmp_ge_u32 s22, s27
	s_cselect_b32 s22, s23, s22
	s_xor_b32 s22, s22, s97
	s_sub_i32 s22, s22, s97
	.loc	1 0 0                           ; fp8_utils_aot.py:0
	s_mul_hi_u32 s57, s25, s40
	.loc	1 57 37 is_stmt 1               ; fp8_utils_aot.py:57:37
	s_mul_i32 s90, s22, s18
	.loc	1 66 20                         ; fp8_utils_aot.py:66:20
	s_and_saveexec_b64 s[22:23], s[20:21]
	s_cbranch_execz .LBB0_32
; %bb.31:
	.loc	1 57 49                         ; fp8_utils_aot.py:57:49
	v_add_u32_e32 v2, s90, v4
	.loc	1 57 18 is_stmt 0               ; fp8_utils_aot.py:57:18
	v_ashrrev_i32_e32 v3, 31, v2
	v_lshl_add_u64 v[2:3], s[2:3], 0, v[2:3]
	.loc	1 66 20 is_stmt 1               ; fp8_utils_aot.py:66:20
	global_load_ubyte v75, v[2:3], off
.LBB0_32:
	.loc	1 0 20 is_stmt 0                ; fp8_utils_aot.py:0:20
	s_or_b64 exec, exec, s[22:23]
	.loc	1 54 68 is_stmt 1               ; fp8_utils_aot.py:54:68
	s_mul_i32 s53, s53, s27
	s_sub_i32 s22, s52, s53
	.loc	1 0 0 is_stmt 0                 ; fp8_utils_aot.py:0
	s_or_b32 s51, s28, 42
	s_or_b32 s56, s7, s50
	s_abs_i32 s55, s58
	.loc	1 54 68                         ; fp8_utils_aot.py:54:68
	s_sub_i32 s23, s22, s27
	s_cmp_ge_u32 s22, s27
	s_cselect_b32 s22, s23, s22
	s_sub_i32 s23, s22, s27
	s_cmp_ge_u32 s22, s27
	s_cselect_b32 s22, s23, s22
	s_xor_b32 s22, s22, s97
	s_sub_i32 s22, s22, s97
	.loc	1 0 0                           ; fp8_utils_aot.py:0
	s_mul_hi_u32 s58, s54, s40
	.loc	1 57 37 is_stmt 1               ; fp8_utils_aot.py:57:37
	s_mul_i32 s91, s22, s18
	v_mov_b32_e32 v77, 0
	v_mov_b32_e32 v78, 0
	.loc	1 66 20                         ; fp8_utils_aot.py:66:20
	s_and_saveexec_b64 s[22:23], s[20:21]
	s_cbranch_execz .LBB0_34
; %bb.33:
	.loc	1 57 49                         ; fp8_utils_aot.py:57:49
	v_add_u32_e32 v2, s91, v4
	.loc	1 57 18 is_stmt 0               ; fp8_utils_aot.py:57:18
	v_ashrrev_i32_e32 v3, 31, v2
	v_lshl_add_u64 v[2:3], s[2:3], 0, v[2:3]
	.loc	1 66 20 is_stmt 1               ; fp8_utils_aot.py:66:20
	global_load_ubyte v78, v[2:3], off
.LBB0_34:
	.loc	1 0 20 is_stmt 0                ; fp8_utils_aot.py:0:20
	s_or_b64 exec, exec, s[22:23]
	.loc	1 54 68 is_stmt 1               ; fp8_utils_aot.py:54:68
	s_mul_i32 s57, s57, s27
	s_sub_i32 s22, s25, s57
	.loc	1 0 0 is_stmt 0                 ; fp8_utils_aot.py:0
	s_or_b32 s52, s28, 44
	s_or_b32 s60, s7, s51
	s_abs_i32 s56, s56
	.loc	1 54 68                         ; fp8_utils_aot.py:54:68
	s_sub_i32 s23, s22, s27
	s_cmp_ge_u32 s22, s27
	s_cselect_b32 s22, s23, s22
	s_sub_i32 s23, s22, s27
	s_cmp_ge_u32 s22, s27
	s_cselect_b32 s22, s23, s22
	s_xor_b32 s22, s22, s97
	s_sub_i32 s22, s22, s97
	.loc	1 0 0                           ; fp8_utils_aot.py:0
	s_mul_hi_u32 s59, s55, s40
	.loc	1 57 37 is_stmt 1               ; fp8_utils_aot.py:57:37
	s_mul_i32 s92, s22, s18
	.loc	1 66 20                         ; fp8_utils_aot.py:66:20
	s_and_saveexec_b64 s[22:23], s[20:21]
	s_cbranch_execz .LBB0_36
; %bb.35:
	.loc	1 57 49                         ; fp8_utils_aot.py:57:49
	v_add_u32_e32 v2, s92, v4
	.loc	1 57 18 is_stmt 0               ; fp8_utils_aot.py:57:18
	v_ashrrev_i32_e32 v3, 31, v2
	v_lshl_add_u64 v[2:3], s[2:3], 0, v[2:3]
	.loc	1 66 20 is_stmt 1               ; fp8_utils_aot.py:66:20
	global_load_ubyte v77, v[2:3], off
.LBB0_36:
	.loc	1 0 20 is_stmt 0                ; fp8_utils_aot.py:0:20
	s_or_b64 exec, exec, s[22:23]
	.loc	1 54 68 is_stmt 1               ; fp8_utils_aot.py:54:68
	s_mul_i32 s58, s58, s27
	s_sub_i32 s22, s54, s58
	.loc	1 0 0 is_stmt 0                 ; fp8_utils_aot.py:0
	s_or_b32 s53, s28, 46
	s_or_b32 s25, s7, s52
	s_abs_i32 s57, s60
	.loc	1 54 68                         ; fp8_utils_aot.py:54:68
	s_sub_i32 s23, s22, s27
	s_cmp_ge_u32 s22, s27
	s_cselect_b32 s22, s23, s22
	s_sub_i32 s23, s22, s27
	s_cmp_ge_u32 s22, s27
	s_cselect_b32 s22, s23, s22
	s_xor_b32 s22, s22, s97
	s_sub_i32 s22, s22, s97
	.loc	1 0 0                           ; fp8_utils_aot.py:0
	s_mul_hi_u32 s60, s56, s40
	.loc	1 57 37 is_stmt 1               ; fp8_utils_aot.py:57:37
	s_mul_i32 s89, s22, s18
	v_mov_b32_e32 v79, 0
	v_mov_b32_e32 v80, 0
	.loc	1 66 20                         ; fp8_utils_aot.py:66:20
	s_and_saveexec_b64 s[22:23], s[20:21]
	s_cbranch_execz .LBB0_38
; %bb.37:
	.loc	1 57 49                         ; fp8_utils_aot.py:57:49
	v_add_u32_e32 v2, s89, v4
	.loc	1 57 18 is_stmt 0               ; fp8_utils_aot.py:57:18
	v_ashrrev_i32_e32 v3, 31, v2
	v_lshl_add_u64 v[2:3], s[2:3], 0, v[2:3]
	.loc	1 66 20 is_stmt 1               ; fp8_utils_aot.py:66:20
	global_load_ubyte v80, v[2:3], off
.LBB0_38:
	.loc	1 0 20 is_stmt 0                ; fp8_utils_aot.py:0:20
	s_or_b64 exec, exec, s[22:23]
	.loc	1 54 68 is_stmt 1               ; fp8_utils_aot.py:54:68
	s_mul_i32 s59, s59, s27
	s_sub_i32 s22, s55, s59
	.loc	1 0 0 is_stmt 0                 ; fp8_utils_aot.py:0
	s_or_b32 s54, s28, 48
	s_or_b32 s63, s7, s53
	s_abs_i32 s58, s25
	.loc	1 54 68                         ; fp8_utils_aot.py:54:68
	s_sub_i32 s23, s22, s27
	s_cmp_ge_u32 s22, s27
	s_cselect_b32 s22, s23, s22
	s_sub_i32 s23, s22, s27
	s_cmp_ge_u32 s22, s27
	s_cselect_b32 s22, s23, s22
	s_xor_b32 s22, s22, s97
	s_sub_i32 s22, s22, s97
	.loc	1 0 0                           ; fp8_utils_aot.py:0
	s_mul_hi_u32 s61, s57, s40
	.loc	1 57 37 is_stmt 1               ; fp8_utils_aot.py:57:37
	s_mul_i32 s93, s22, s18
	.loc	1 66 20                         ; fp8_utils_aot.py:66:20
	s_and_saveexec_b64 s[22:23], s[20:21]
	s_cbranch_execz .LBB0_40
; %bb.39:
	.loc	1 57 49                         ; fp8_utils_aot.py:57:49
	v_add_u32_e32 v2, s93, v4
	.loc	1 57 18 is_stmt 0               ; fp8_utils_aot.py:57:18
	v_ashrrev_i32_e32 v3, 31, v2
	v_lshl_add_u64 v[2:3], s[2:3], 0, v[2:3]
	.loc	1 66 20 is_stmt 1               ; fp8_utils_aot.py:66:20
	global_load_ubyte v79, v[2:3], off
.LBB0_40:
	.loc	1 0 20 is_stmt 0                ; fp8_utils_aot.py:0:20
	s_or_b64 exec, exec, s[22:23]
	.loc	1 54 68 is_stmt 1               ; fp8_utils_aot.py:54:68
	s_mul_i32 s60, s60, s27
	s_sub_i32 s22, s56, s60
	.loc	1 0 0 is_stmt 0                 ; fp8_utils_aot.py:0
	s_or_b32 s55, s28, 50
	s_or_b32 s62, s7, s54
	s_abs_i32 s25, s63
	.loc	1 54 68                         ; fp8_utils_aot.py:54:68
	s_sub_i32 s23, s22, s27
	s_cmp_ge_u32 s22, s27
	s_cselect_b32 s22, s23, s22
	s_sub_i32 s23, s22, s27
	s_cmp_ge_u32 s22, s27
	s_cselect_b32 s22, s23, s22
	s_xor_b32 s22, s22, s97
	s_sub_i32 s22, s22, s97
	.loc	1 0 0                           ; fp8_utils_aot.py:0
	s_mul_hi_u32 s59, s58, s40
	.loc	1 57 37 is_stmt 1               ; fp8_utils_aot.py:57:37
	s_mul_i32 s94, s22, s18
	v_mov_b32_e32 v81, 0
	v_mov_b32_e32 v82, 0
	.loc	1 66 20                         ; fp8_utils_aot.py:66:20
	s_and_saveexec_b64 s[22:23], s[20:21]
	s_cbranch_execz .LBB0_42
; %bb.41:
	.loc	1 57 49                         ; fp8_utils_aot.py:57:49
	v_add_u32_e32 v2, s94, v4
	.loc	1 57 18 is_stmt 0               ; fp8_utils_aot.py:57:18
	v_ashrrev_i32_e32 v3, 31, v2
	v_lshl_add_u64 v[2:3], s[2:3], 0, v[2:3]
	.loc	1 66 20 is_stmt 1               ; fp8_utils_aot.py:66:20
	global_load_ubyte v82, v[2:3], off
.LBB0_42:
	.loc	1 0 20 is_stmt 0                ; fp8_utils_aot.py:0:20
	s_or_b64 exec, exec, s[22:23]
	.loc	1 54 68 is_stmt 1               ; fp8_utils_aot.py:54:68
	s_mul_i32 s61, s61, s27
	s_sub_i32 s22, s57, s61
	s_xor_b32 s63, s24, s66
	s_abs_i32 s75, s13
	.loc	1 0 0 is_stmt 0                 ; fp8_utils_aot.py:0
	s_or_b32 s56, s28, 52
	s_or_b32 s12, s7, s55
	s_abs_i32 s60, s62
	.loc	1 54 68                         ; fp8_utils_aot.py:54:68
	s_sub_i32 s23, s22, s27
	s_cmp_ge_u32 s22, s27
	s_cselect_b32 s22, s23, s22
	s_sub_i32 s23, s22, s27
	s_cmp_ge_u32 s22, s27
	s_cselect_b32 s22, s23, s22
	s_xor_b32 s22, s22, s97
	s_sub_i32 s22, s22, s97
	.loc	1 0 0                           ; fp8_utils_aot.py:0
	s_mul_hi_u32 s24, s25, s40
	.loc	1 57 37 is_stmt 1               ; fp8_utils_aot.py:57:37
	s_mul_i32 s96, s22, s18
	.loc	1 66 20                         ; fp8_utils_aot.py:66:20
	s_and_saveexec_b64 s[22:23], s[20:21]
	s_cbranch_execz .LBB0_44
; %bb.43:
	.loc	1 57 49                         ; fp8_utils_aot.py:57:49
	v_add_u32_e32 v2, s96, v4
	.loc	1 57 18 is_stmt 0               ; fp8_utils_aot.py:57:18
	v_ashrrev_i32_e32 v3, 31, v2
	v_lshl_add_u64 v[2:3], s[2:3], 0, v[2:3]
	.loc	1 66 20 is_stmt 1               ; fp8_utils_aot.py:66:20
	global_load_ubyte v81, v[2:3], off
.LBB0_44:
	.loc	1 0 20 is_stmt 0                ; fp8_utils_aot.py:0:20
	s_or_b64 exec, exec, s[22:23]
	.loc	1 54 68 is_stmt 1               ; fp8_utils_aot.py:54:68
	s_mul_i32 s59, s59, s27
	s_sub_i32 s22, s58, s59
	s_ashr_i32 s62, s63, 31
	.loc	1 0 0 is_stmt 0                 ; fp8_utils_aot.py:0
	s_or_b32 s57, s28, 54
	s_or_b32 s61, s7, s56
	s_abs_i32 s12, s12
	.loc	1 54 68                         ; fp8_utils_aot.py:54:68
	s_sub_i32 s23, s22, s27
	s_cmp_ge_u32 s22, s27
	s_cselect_b32 s22, s23, s22
	s_sub_i32 s23, s22, s27
	s_cmp_ge_u32 s22, s27
	v_cvt_f32_u32_e32 v2, s75
	s_cselect_b32 s22, s23, s22
	s_xor_b32 s22, s22, s97
	s_sub_i32 s22, s22, s97
	.loc	1 0 0                           ; fp8_utils_aot.py:0
	s_mul_hi_u32 s64, s60, s40
	.loc	1 57 37 is_stmt 1               ; fp8_utils_aot.py:57:37
	s_mul_i32 s98, s22, s18
	v_mov_b32_e32 v83, 0
	v_mov_b32_e32 v84, 0
	.loc	1 66 20                         ; fp8_utils_aot.py:66:20
	s_and_saveexec_b64 s[22:23], s[20:21]
	s_cbranch_execz .LBB0_46
; %bb.45:
	.loc	1 57 49                         ; fp8_utils_aot.py:57:49
	v_add_u32_e32 v6, s98, v4
	.loc	1 57 18 is_stmt 0               ; fp8_utils_aot.py:57:18
	v_ashrrev_i32_e32 v7, 31, v6
	v_lshl_add_u64 v[6:7], s[2:3], 0, v[6:7]
	.loc	1 66 20 is_stmt 1               ; fp8_utils_aot.py:66:20
	global_load_ubyte v84, v[6:7], off
.LBB0_46:
	.loc	1 0 20 is_stmt 0                ; fp8_utils_aot.py:0:20
	s_or_b64 exec, exec, s[22:23]
	.loc	1 54 68 is_stmt 1               ; fp8_utils_aot.py:54:68
	s_mul_i32 s24, s24, s27
	s_sub_i32 s22, s25, s24
	s_xor_b32 s59, s6, s62
	.loc	1 0 0 is_stmt 0                 ; fp8_utils_aot.py:0
	s_or_b32 s58, s28, 56
	s_or_b32 s63, s7, s57
	s_abs_i32 s6, s61
	.loc	1 54 68                         ; fp8_utils_aot.py:54:68
	s_sub_i32 s23, s22, s27
	s_cmp_ge_u32 s22, s27
	s_cselect_b32 s22, s23, s22
	s_sub_i32 s23, s22, s27
	s_cmp_ge_u32 s22, s27
	v_rcp_iflag_f32_e32 v2, v2
	s_cselect_b32 s22, s23, s22
	s_xor_b32 s22, s22, s97
	s_sub_i32 s22, s22, s97
	.loc	1 0 0                           ; fp8_utils_aot.py:0
	s_mul_hi_u32 s61, s12, s40
	.loc	1 57 37 is_stmt 1               ; fp8_utils_aot.py:57:37
	s_mul_i32 s99, s22, s18
	.loc	1 66 20                         ; fp8_utils_aot.py:66:20
	s_and_saveexec_b64 s[22:23], s[20:21]
	s_cbranch_execz .LBB0_48
; %bb.47:
	.loc	1 57 49                         ; fp8_utils_aot.py:57:49
	v_add_u32_e32 v6, s99, v4
	.loc	1 57 18 is_stmt 0               ; fp8_utils_aot.py:57:18
	v_ashrrev_i32_e32 v7, 31, v6
	v_lshl_add_u64 v[6:7], s[2:3], 0, v[6:7]
	.loc	1 66 20 is_stmt 1               ; fp8_utils_aot.py:66:20
	global_load_ubyte v83, v[6:7], off
.LBB0_48:
	.loc	1 0 20 is_stmt 0                ; fp8_utils_aot.py:0:20
	s_or_b64 exec, exec, s[22:23]
	.loc	1 54 68 is_stmt 1               ; fp8_utils_aot.py:54:68
	s_mul_i32 s64, s64, s27
	s_sub_i32 s22, s60, s64
	s_sub_i32 s62, s59, s62
	.loc	1 0 0 is_stmt 0                 ; fp8_utils_aot.py:0
	s_or_b32 s59, s28, 58
	s_or_b32 s25, s7, s58
	s_abs_i32 s24, s63
	.loc	1 54 68                         ; fp8_utils_aot.py:54:68
	s_sub_i32 s23, s22, s27
	s_cmp_ge_u32 s22, s27
	s_cselect_b32 s22, s23, s22
	s_sub_i32 s23, s22, s27
	s_cmp_ge_u32 s22, s27
	s_cselect_b32 s22, s23, s22
	s_xor_b32 s22, s22, s97
	s_sub_i32 s22, s22, s97
	.loc	1 57 37 is_stmt 1               ; fp8_utils_aot.py:57:37
	s_mul_i32 s22, s22, s18
	v_mul_f32_e32 v2, 0x4f7ffffe, v2
	.loc	1 0 0 is_stmt 0                 ; fp8_utils_aot.py:0
	s_mul_hi_u32 s63, s6, s40
	v_writelane_b32 v255, s22, 4
	v_mov_b32_e32 v85, 0
	v_mov_b32_e32 v86, 0
	.loc	1 66 20 is_stmt 1               ; fp8_utils_aot.py:66:20
	s_and_saveexec_b64 s[22:23], s[20:21]
	s_cbranch_execz .LBB0_50
; %bb.49:
	.loc	1 57 49                         ; fp8_utils_aot.py:57:49
	v_readlane_b32 s60, v255, 4
	s_nop 1
	v_add_u32_e32 v6, s60, v4
	.loc	1 57 18 is_stmt 0               ; fp8_utils_aot.py:57:18
	v_ashrrev_i32_e32 v7, 31, v6
	v_lshl_add_u64 v[6:7], s[2:3], 0, v[6:7]
	.loc	1 66 20 is_stmt 1               ; fp8_utils_aot.py:66:20
	global_load_ubyte v86, v[6:7], off
.LBB0_50:
	.loc	1 0 20 is_stmt 0                ; fp8_utils_aot.py:0:20
	s_or_b64 exec, exec, s[22:23]
	.loc	1 54 68 is_stmt 1               ; fp8_utils_aot.py:54:68
	s_mul_i32 s61, s61, s27
	s_sub_i32 s12, s12, s61
	s_lshl_b32 s78, s62, 7
	s_sub_i32 s66, 0, s75
	.loc	1 0 0 is_stmt 0                 ; fp8_utils_aot.py:0
	s_or_b32 s60, s28, 60
	s_or_b32 s65, s7, s59
	s_abs_i32 s25, s25
	.loc	1 54 68                         ; fp8_utils_aot.py:54:68
	s_sub_i32 s22, s12, s27
	s_cmp_ge_u32 s12, s27
	s_cselect_b32 s12, s22, s12
	s_sub_i32 s22, s12, s27
	s_cmp_ge_u32 s12, s27
	s_cselect_b32 s12, s22, s12
	v_cvt_u32_f32_e32 v2, v2
	s_xor_b32 s12, s12, s97
	s_sub_i32 s12, s12, s97
	.loc	1 57 37 is_stmt 1               ; fp8_utils_aot.py:57:37
	s_mul_i32 s12, s12, s18
	.loc	1 0 0 is_stmt 0                 ; fp8_utils_aot.py:0
	s_mul_hi_u32 s64, s24, s40
	.loc	1 66 20 is_stmt 1               ; fp8_utils_aot.py:66:20
	v_writelane_b32 v255, s12, 5
	s_and_saveexec_b64 s[22:23], s[20:21]
	s_cbranch_execz .LBB0_52
; %bb.51:
	.loc	1 57 49                         ; fp8_utils_aot.py:57:49
	v_readlane_b32 s12, v255, 5
	s_nop 1
	v_add_u32_e32 v6, s12, v4
	.loc	1 57 18 is_stmt 0               ; fp8_utils_aot.py:57:18
	v_ashrrev_i32_e32 v7, 31, v6
	v_lshl_add_u64 v[6:7], s[2:3], 0, v[6:7]
	.loc	1 66 20 is_stmt 1               ; fp8_utils_aot.py:66:20
	global_load_ubyte v85, v[6:7], off
.LBB0_52:
	.loc	1 0 20 is_stmt 0                ; fp8_utils_aot.py:0:20
	s_or_b64 exec, exec, s[22:23]
	.loc	1 54 68 is_stmt 1               ; fp8_utils_aot.py:54:68
	s_mul_i32 s63, s63, s27
	s_sub_i32 s6, s6, s63
	s_bfe_i32 s12, s62, 0x10018
	v_mul_lo_u32 v5, s66, v2
	.loc	1 0 0 is_stmt 0                 ; fp8_utils_aot.py:0
	s_or_b32 s61, s28, 62
	s_or_b32 s66, s7, s60
	s_abs_i32 s62, s65
	.loc	1 54 68                         ; fp8_utils_aot.py:54:68
	s_sub_i32 s22, s6, s27
	s_cmp_ge_u32 s6, s27
	s_cselect_b32 s6, s22, s6
	s_sub_i32 s22, s6, s27
	s_cmp_ge_u32 s6, s27
	s_cselect_b32 s6, s22, s6
	s_xor_b32 s6, s6, s97
	s_sub_i32 s6, s6, s97
	.loc	1 57 37 is_stmt 1               ; fp8_utils_aot.py:57:37
	s_mul_i32 s6, s6, s18
	v_or_b32_e32 v3, s78, v73
	.loc	1 0 0 is_stmt 0                 ; fp8_utils_aot.py:0
	s_mul_hi_u32 s65, s25, s40
	v_writelane_b32 v255, s6, 6
	v_mov_b32_e32 v87, 0
	v_mov_b32_e32 v88, 0
	.loc	1 66 20 is_stmt 1               ; fp8_utils_aot.py:66:20
	s_and_saveexec_b64 s[22:23], s[20:21]
	s_cbranch_execz .LBB0_54
; %bb.53:
	.loc	1 57 49                         ; fp8_utils_aot.py:57:49
	v_readlane_b32 s6, v255, 6
	s_nop 1
	v_add_u32_e32 v6, s6, v4
	.loc	1 57 18 is_stmt 0               ; fp8_utils_aot.py:57:18
	v_ashrrev_i32_e32 v7, 31, v6
	v_lshl_add_u64 v[6:7], s[2:3], 0, v[6:7]
	.loc	1 66 20 is_stmt 1               ; fp8_utils_aot.py:66:20
	global_load_ubyte v88, v[6:7], off
.LBB0_54:
	.loc	1 0 20 is_stmt 0                ; fp8_utils_aot.py:0:20
	s_or_b64 exec, exec, s[22:23]
	.loc	1 54 68 is_stmt 1               ; fp8_utils_aot.py:54:68
	s_mul_i32 s64, s64, s27
	s_sub_i32 s22, s24, s64
	.loc	1 0 0 is_stmt 0                 ; fp8_utils_aot.py:0
	s_or_b32 s67, s7, s61
	s_abs_i32 s6, s66
	.loc	1 54 68                         ; fp8_utils_aot.py:54:68
	s_sub_i32 s23, s22, s27
	s_cmp_ge_u32 s22, s27
	s_cselect_b32 s22, s23, s22
	s_sub_i32 s23, s22, s27
	s_cmp_ge_u32 s22, s27
	s_cselect_b32 s22, s23, s22
	s_xor_b32 s22, s22, s97
	s_sub_i32 s22, s22, s97
	.loc	1 57 37 is_stmt 1               ; fp8_utils_aot.py:57:37
	s_mul_i32 s22, s22, s18
	.loc	1 0 0 is_stmt 0                 ; fp8_utils_aot.py:0
	v_mul_hi_u32 v5, v2, v5
	v_add_u32_e32 v3, s12, v3
	s_mul_hi_u32 s63, s62, s40
	.loc	1 66 20 is_stmt 1               ; fp8_utils_aot.py:66:20
	v_writelane_b32 v255, s22, 7
	s_and_saveexec_b64 s[22:23], s[20:21]
	s_cbranch_execz .LBB0_56
; %bb.55:
	.loc	1 57 49                         ; fp8_utils_aot.py:57:49
	v_readlane_b32 s24, v255, 7
	s_nop 1
	v_add_u32_e32 v6, s24, v4
	.loc	1 57 18 is_stmt 0               ; fp8_utils_aot.py:57:18
	v_ashrrev_i32_e32 v7, 31, v6
	v_lshl_add_u64 v[6:7], s[2:3], 0, v[6:7]
	.loc	1 66 20 is_stmt 1               ; fp8_utils_aot.py:66:20
	global_load_ubyte v87, v[6:7], off
.LBB0_56:
	.loc	1 0 20 is_stmt 0                ; fp8_utils_aot.py:0:20
	s_or_b64 exec, exec, s[22:23]
	.loc	1 54 68 is_stmt 1               ; fp8_utils_aot.py:54:68
	s_mul_i32 s65, s65, s27
	s_sub_i32 s22, s25, s65
	.loc	1 0 0 is_stmt 0                 ; fp8_utils_aot.py:0
	s_abs_i32 s24, s67
	.loc	1 54 68                         ; fp8_utils_aot.py:54:68
	s_sub_i32 s23, s22, s27
	s_cmp_ge_u32 s22, s27
	s_cselect_b32 s22, s23, s22
	s_sub_i32 s23, s22, s27
	s_cmp_ge_u32 s22, s27
	s_cselect_b32 s22, s23, s22
	s_xor_b32 s22, s22, s97
	s_sub_i32 s22, s22, s97
	.loc	1 0 0                           ; fp8_utils_aot.py:0
	v_add_u32_e32 v40, v2, v5
	v_xor_b32_e32 v5, s12, v3
	s_mul_hi_u32 s64, s6, s40
	.loc	1 57 37 is_stmt 1               ; fp8_utils_aot.py:57:37
	s_mul_i32 s65, s22, s18
	v_mov_b32_e32 v89, 0
	v_mov_b32_e32 v90, 0
	.loc	1 66 20                         ; fp8_utils_aot.py:66:20
	s_and_saveexec_b64 s[22:23], s[20:21]
	s_cbranch_execz .LBB0_58
; %bb.57:
	.loc	1 57 49                         ; fp8_utils_aot.py:57:49
	v_add_u32_e32 v2, s65, v4
	.loc	1 57 18 is_stmt 0               ; fp8_utils_aot.py:57:18
	v_ashrrev_i32_e32 v3, 31, v2
	v_lshl_add_u64 v[2:3], s[2:3], 0, v[2:3]
	.loc	1 66 20 is_stmt 1               ; fp8_utils_aot.py:66:20
	global_load_ubyte v90, v[2:3], off
.LBB0_58:
	.loc	1 0 20 is_stmt 0                ; fp8_utils_aot.py:0:20
	s_or_b64 exec, exec, s[22:23]
	v_mad_u64_u32 v[2:3], s[22:23], v5, v40, 0
	.loc	1 54 68 is_stmt 1               ; fp8_utils_aot.py:54:68
	s_mul_i32 s63, s63, s27
	s_sub_i32 s22, s62, s63
	s_sub_i32 s23, s22, s27
	s_cmp_ge_u32 s22, s27
	s_cselect_b32 s22, s23, s22
	s_sub_i32 s23, s22, s27
	s_cmp_ge_u32 s22, s27
	s_cselect_b32 s22, s23, s22
	s_xor_b32 s22, s22, s97
	s_sub_i32 s95, s22, s97
	.loc	1 0 0 is_stmt 0                 ; fp8_utils_aot.py:0
	s_mul_hi_u32 s25, s24, s40
	.loc	1 57 37 is_stmt 1               ; fp8_utils_aot.py:57:37
	s_mul_i32 s66, s95, s18
	.loc	1 66 20                         ; fp8_utils_aot.py:66:20
	s_and_saveexec_b64 s[22:23], s[20:21]
	s_cbranch_execz .LBB0_60
; %bb.59:
	.loc	1 57 49                         ; fp8_utils_aot.py:57:49
	v_add_u32_e32 v6, s66, v4
	.loc	1 57 18 is_stmt 0               ; fp8_utils_aot.py:57:18
	v_ashrrev_i32_e32 v7, 31, v6
	v_lshl_add_u64 v[6:7], s[2:3], 0, v[6:7]
	.loc	1 66 20 is_stmt 1               ; fp8_utils_aot.py:66:20
	global_load_ubyte v89, v[6:7], off
.LBB0_60:
	.loc	1 0 20 is_stmt 0                ; fp8_utils_aot.py:0:20
	s_or_b64 exec, exec, s[22:23]
	.loc	1 54 68 is_stmt 1               ; fp8_utils_aot.py:54:68
	s_mul_i32 s64, s64, s27
	s_sub_i32 s6, s6, s64
	s_sub_i32 s22, s6, s27
	s_cmp_ge_u32 s6, s27
	s_cselect_b32 s6, s22, s6
	s_sub_i32 s22, s6, s27
	s_cmp_ge_u32 s6, s27
	s_cselect_b32 s6, s22, s6
	s_xor_b32 s6, s6, s97
	s_sub_i32 s72, s6, s97
	.loc	1 57 37                         ; fp8_utils_aot.py:57:37
	s_mul_i32 s64, s72, s18
	v_mov_b32_e32 v93, 0
	v_mov_b32_e32 v94, 0
	.loc	1 66 20                         ; fp8_utils_aot.py:66:20
	s_and_saveexec_b64 s[22:23], s[20:21]
	s_cbranch_execz .LBB0_62
; %bb.61:
	.loc	1 57 49                         ; fp8_utils_aot.py:57:49
	v_add_u32_e32 v6, s64, v4
	.loc	1 57 18 is_stmt 0               ; fp8_utils_aot.py:57:18
	v_ashrrev_i32_e32 v7, 31, v6
	v_lshl_add_u64 v[6:7], s[2:3], 0, v[6:7]
	.loc	1 66 20 is_stmt 1               ; fp8_utils_aot.py:66:20
	global_load_ubyte v94, v[6:7], off
.LBB0_62:
	.loc	1 0 20 is_stmt 0                ; fp8_utils_aot.py:0:20
	s_or_b64 exec, exec, s[22:23]
	.loc	1 54 68 is_stmt 1               ; fp8_utils_aot.py:54:68
	s_mul_i32 s25, s25, s27
	s_sub_i32 s6, s24, s25
	s_sub_i32 s24, s6, s27
	s_cmp_ge_u32 s6, s27
	s_cselect_b32 s6, s24, s6
	s_sub_i32 s24, s6, s27
	s_load_dwordx2 s[22:23], s[0:1], 0x44
	s_cmp_ge_u32 s6, s27
	s_cselect_b32 s6, s24, s6
	s_xor_b32 s6, s6, s97
	s_sub_i32 s6, s6, s97
	.loc	1 57 37                         ; fp8_utils_aot.py:57:37
	s_mul_i32 s6, s6, s18
	.loc	1 66 20                         ; fp8_utils_aot.py:66:20
	s_and_saveexec_b64 s[24:25], s[20:21]
	s_cbranch_execz .LBB0_64
; %bb.63:
	.loc	1 57 49                         ; fp8_utils_aot.py:57:49
	v_add_u32_e32 v6, s6, v4
	.loc	1 57 18 is_stmt 0               ; fp8_utils_aot.py:57:18
	v_ashrrev_i32_e32 v7, 31, v6
	v_lshl_add_u64 v[6:7], s[2:3], 0, v[6:7]
	.loc	1 66 20 is_stmt 1               ; fp8_utils_aot.py:66:20
	global_load_ubyte v93, v[6:7], off
.LBB0_64:
	.loc	1 0 20 is_stmt 0                ; fp8_utils_aot.py:0:20
	s_or_b64 exec, exec, s[24:25]
	.loc	1 55 68 is_stmt 1               ; fp8_utils_aot.py:55:68
	v_mul_lo_u32 v2, v3, s75
	v_sub_u32_e32 v2, v5, v2
	v_subrev_u32_e32 v3, s75, v2
	v_cmp_le_u32_e32 vcc, s75, v2
	.loc	1 67 51                         ; fp8_utils_aot.py:67:51
	s_cmp_ge_i32 s28, s14
	.loc	1 58 36                         ; fp8_utils_aot.py:58:36
	s_waitcnt lgkmcnt(0)
	s_mul_i32 s18, s28, s22
	.loc	1 55 68                         ; fp8_utils_aot.py:55:68
	v_cndmask_b32_e32 v2, v2, v3, vcc
	v_subrev_u32_e32 v3, s75, v2
	v_cmp_le_u32_e32 vcc, s75, v2
	.loc	1 67 51                         ; fp8_utils_aot.py:67:51
	s_cselect_b64 s[24:25], -1, 0
	.loc	1 65 22                         ; fp8_utils_aot.py:65:22
	s_xor_b64 s[20:21], s[16:17], -1
	.loc	1 55 68                         ; fp8_utils_aot.py:55:68
	v_cndmask_b32_e32 v2, v2, v3, vcc
	v_xor_b32_e32 v2, s12, v2
	v_subrev_u32_e32 v2, s12, v2
	.loc	1 58 67                         ; fp8_utils_aot.py:58:67
	v_mul_lo_u32 v2, v2, s23
	.loc	1 58 48 is_stmt 0               ; fp8_utils_aot.py:58:48
	v_add_u32_e32 v32, s18, v2
	.loc	1 67 20 is_stmt 1               ; fp8_utils_aot.py:67:20
	s_or_b64 s[24:25], s[20:21], s[24:25]
	.loc	1 58 18                         ; fp8_utils_aot.py:58:18
	v_ashrrev_i32_e32 v33, 31, v32
	.loc	1 67 20                         ; fp8_utils_aot.py:67:20
	s_and_b64 vcc, exec, s[24:25]
	s_cbranch_vccnz .LBB0_66
; %bb.65:
	.loc	1 58 18                         ; fp8_utils_aot.py:58:18
	v_lshl_add_u64 v[2:3], s[4:5], 0, v[32:33]
	.loc	1 67 20                         ; fp8_utils_aot.py:67:20
	global_load_ubyte v96, v[2:3], off
	s_branch .LBB0_67
.LBB0_66:
	.loc	1 0 20 is_stmt 0                ; fp8_utils_aot.py:0:20
	v_mov_b32_e32 v96, 0
.LBB0_67:
	.loc	1 67 51 is_stmt 1               ; fp8_utils_aot.py:67:51
	s_cmp_ge_i32 s29, s14
	s_cselect_b64 s[24:25], -1, 0
	.loc	1 58 48                         ; fp8_utils_aot.py:58:48
	v_lshl_add_u32 v104, s22, 1, v32
	.loc	1 67 20                         ; fp8_utils_aot.py:67:20
	s_or_b64 s[24:25], s[20:21], s[24:25]
	.loc	1 58 18                         ; fp8_utils_aot.py:58:18
	v_ashrrev_i32_e32 v105, 31, v104
	.loc	1 67 20                         ; fp8_utils_aot.py:67:20
	s_and_b64 vcc, exec, s[24:25]
	s_cbranch_vccnz .LBB0_69
; %bb.68:
	.loc	1 58 18                         ; fp8_utils_aot.py:58:18
	v_lshl_add_u64 v[2:3], s[4:5], 0, v[104:105]
	.loc	1 67 20                         ; fp8_utils_aot.py:67:20
	global_load_ubyte v97, v[2:3], off
	s_branch .LBB0_70
.LBB0_69:
	.loc	1 0 20 is_stmt 0                ; fp8_utils_aot.py:0:20
	v_mov_b32_e32 v97, 0
.LBB0_70:
	.loc	1 67 51 is_stmt 1               ; fp8_utils_aot.py:67:51
	s_cmp_ge_i32 s30, s14
	s_cselect_b64 s[24:25], -1, 0
	.loc	1 58 48                         ; fp8_utils_aot.py:58:48
	v_lshl_add_u32 v106, s22, 2, v32
	.loc	1 67 20                         ; fp8_utils_aot.py:67:20
	s_or_b64 s[24:25], s[20:21], s[24:25]
	.loc	1 58 18                         ; fp8_utils_aot.py:58:18
	v_ashrrev_i32_e32 v107, 31, v106
	.loc	1 67 20                         ; fp8_utils_aot.py:67:20
	s_and_b64 vcc, exec, s[24:25]
	s_cbranch_vccnz .LBB0_72
; %bb.71:
	.loc	1 58 18                         ; fp8_utils_aot.py:58:18
	v_lshl_add_u64 v[2:3], s[4:5], 0, v[106:107]
	.loc	1 67 20                         ; fp8_utils_aot.py:67:20
	global_load_ubyte v102, v[2:3], off
	s_branch .LBB0_73
.LBB0_72:
	.loc	1 0 20 is_stmt 0                ; fp8_utils_aot.py:0:20
	v_mov_b32_e32 v102, 0
.LBB0_73:
	.loc	1 58 48 is_stmt 1               ; fp8_utils_aot.py:58:48
	v_mad_u64_u32 v[108:109], s[24:25], s22, 6, v[32:33]
	.loc	1 67 51                         ; fp8_utils_aot.py:67:51
	s_cmp_ge_i32 s31, s14
	s_cselect_b64 s[24:25], -1, 0
	.loc	1 67 20 is_stmt 0               ; fp8_utils_aot.py:67:20
	s_or_b64 s[24:25], s[20:21], s[24:25]
	.loc	1 58 18 is_stmt 1               ; fp8_utils_aot.py:58:18
	v_ashrrev_i32_e32 v109, 31, v108
	.loc	1 67 20                         ; fp8_utils_aot.py:67:20
	s_and_b64 vcc, exec, s[24:25]
	s_cbranch_vccnz .LBB0_75
; %bb.74:
	.loc	1 58 18                         ; fp8_utils_aot.py:58:18
	v_lshl_add_u64 v[2:3], s[4:5], 0, v[108:109]
	.loc	1 67 20                         ; fp8_utils_aot.py:67:20
	global_load_ubyte v103, v[2:3], off
	s_branch .LBB0_76
.LBB0_75:
	.loc	1 0 20 is_stmt 0                ; fp8_utils_aot.py:0:20
	v_mov_b32_e32 v103, 0
.LBB0_76:
	.loc	1 67 51 is_stmt 1               ; fp8_utils_aot.py:67:51
	s_cmp_ge_i32 s33, s14
	s_cselect_b64 s[24:25], -1, 0
	.loc	1 58 48                         ; fp8_utils_aot.py:58:48
	v_lshl_add_u32 v110, s22, 3, v32
	.loc	1 67 20                         ; fp8_utils_aot.py:67:20
	s_or_b64 s[24:25], s[20:21], s[24:25]
	.loc	1 58 18                         ; fp8_utils_aot.py:58:18
	v_ashrrev_i32_e32 v111, 31, v110
	.loc	1 67 20                         ; fp8_utils_aot.py:67:20
	s_and_b64 vcc, exec, s[24:25]
	s_cbranch_vccnz .LBB0_78
; %bb.77:
	.loc	1 58 18                         ; fp8_utils_aot.py:58:18
	v_lshl_add_u64 v[2:3], s[4:5], 0, v[110:111]
	.loc	1 67 20                         ; fp8_utils_aot.py:67:20
	global_load_ubyte v160, v[2:3], off
	s_branch .LBB0_79
.LBB0_78:
	.loc	1 0 20 is_stmt 0                ; fp8_utils_aot.py:0:20
	v_mov_b32_e32 v160, 0
.LBB0_79:
	.loc	1 58 48 is_stmt 1               ; fp8_utils_aot.py:58:48
	v_mad_u64_u32 v[228:229], s[24:25], s22, 10, v[32:33]
	.loc	1 67 51                         ; fp8_utils_aot.py:67:51
	s_cmp_ge_i32 s34, s14
	s_cselect_b64 s[24:25], -1, 0
	.loc	1 67 20 is_stmt 0               ; fp8_utils_aot.py:67:20
	s_or_b64 s[24:25], s[20:21], s[24:25]
	.loc	1 58 18 is_stmt 1               ; fp8_utils_aot.py:58:18
	v_ashrrev_i32_e32 v229, 31, v228
	.loc	1 67 20                         ; fp8_utils_aot.py:67:20
	s_and_b64 vcc, exec, s[24:25]
	s_cbranch_vccnz .LBB0_81
; %bb.80:
	.loc	1 58 18                         ; fp8_utils_aot.py:58:18
	v_lshl_add_u64 v[2:3], s[4:5], 0, v[228:229]
	.loc	1 67 20                         ; fp8_utils_aot.py:67:20
	global_load_ubyte v161, v[2:3], off
	s_branch .LBB0_82
.LBB0_81:
	.loc	1 0 20 is_stmt 0                ; fp8_utils_aot.py:0:20
	v_mov_b32_e32 v161, 0
.LBB0_82:
	.loc	1 58 48 is_stmt 1               ; fp8_utils_aot.py:58:48
	v_mad_u64_u32 v[230:231], s[24:25], s22, 12, v[32:33]
	.loc	1 67 51                         ; fp8_utils_aot.py:67:51
	s_cmp_ge_i32 s35, s14
	s_cselect_b64 s[24:25], -1, 0
	.loc	1 67 20 is_stmt 0               ; fp8_utils_aot.py:67:20
	s_or_b64 s[24:25], s[20:21], s[24:25]
	.loc	1 58 18 is_stmt 1               ; fp8_utils_aot.py:58:18
	;; [unrolled: 22-line block ×3, first 2 shown]
	v_ashrrev_i32_e32 v233, 31, v232
	.loc	1 67 20                         ; fp8_utils_aot.py:67:20
	s_and_b64 vcc, exec, s[24:25]
	s_cbranch_vccnz .LBB0_87
; %bb.86:
	.loc	1 58 18                         ; fp8_utils_aot.py:58:18
	v_lshl_add_u64 v[2:3], s[4:5], 0, v[232:233]
	.loc	1 67 20                         ; fp8_utils_aot.py:67:20
	global_load_ubyte v163, v[2:3], off
	s_branch .LBB0_88
.LBB0_87:
	.loc	1 0 20 is_stmt 0                ; fp8_utils_aot.py:0:20
	v_mov_b32_e32 v163, 0
.LBB0_88:
	.loc	1 67 51 is_stmt 1               ; fp8_utils_aot.py:67:51
	s_cmp_ge_i32 s37, s14
	s_cselect_b64 s[24:25], -1, 0
	.loc	1 58 48                         ; fp8_utils_aot.py:58:48
	v_lshl_add_u32 v234, s22, 4, v32
	.loc	1 67 20                         ; fp8_utils_aot.py:67:20
	s_or_b64 s[24:25], s[20:21], s[24:25]
	.loc	1 58 18                         ; fp8_utils_aot.py:58:18
	v_ashrrev_i32_e32 v235, 31, v234
	.loc	1 67 20                         ; fp8_utils_aot.py:67:20
	s_and_b64 vcc, exec, s[24:25]
	s_cbranch_vccnz .LBB0_90
; %bb.89:
	.loc	1 58 18                         ; fp8_utils_aot.py:58:18
	v_lshl_add_u64 v[2:3], s[4:5], 0, v[234:235]
	.loc	1 67 20                         ; fp8_utils_aot.py:67:20
	global_load_ubyte v164, v[2:3], off
	s_branch .LBB0_91
.LBB0_90:
	.loc	1 0 20 is_stmt 0                ; fp8_utils_aot.py:0:20
	v_mov_b32_e32 v164, 0
.LBB0_91:
	.loc	1 58 48 is_stmt 1               ; fp8_utils_aot.py:58:48
	v_mad_u64_u32 v[236:237], s[24:25], s22, 18, v[32:33]
	.loc	1 67 51                         ; fp8_utils_aot.py:67:51
	s_cmp_ge_i32 s38, s14
	s_cselect_b64 s[24:25], -1, 0
	.loc	1 67 20 is_stmt 0               ; fp8_utils_aot.py:67:20
	s_or_b64 s[24:25], s[20:21], s[24:25]
	.loc	1 58 18 is_stmt 1               ; fp8_utils_aot.py:58:18
	v_ashrrev_i32_e32 v237, 31, v236
	.loc	1 67 20                         ; fp8_utils_aot.py:67:20
	s_and_b64 vcc, exec, s[24:25]
	s_cbranch_vccnz .LBB0_93
; %bb.92:
	.loc	1 58 18                         ; fp8_utils_aot.py:58:18
	v_lshl_add_u64 v[2:3], s[4:5], 0, v[236:237]
	.loc	1 67 20                         ; fp8_utils_aot.py:67:20
	global_load_ubyte v165, v[2:3], off
	s_branch .LBB0_94
.LBB0_93:
	.loc	1 0 20 is_stmt 0                ; fp8_utils_aot.py:0:20
	v_mov_b32_e32 v165, 0
.LBB0_94:
	.loc	1 58 48 is_stmt 1               ; fp8_utils_aot.py:58:48
	v_mad_u64_u32 v[238:239], s[24:25], s22, 20, v[32:33]
	.loc	1 67 51                         ; fp8_utils_aot.py:67:51
	s_cmp_ge_i32 s39, s14
	s_cselect_b64 s[24:25], -1, 0
	.loc	1 67 20 is_stmt 0               ; fp8_utils_aot.py:67:20
	s_or_b64 s[24:25], s[20:21], s[24:25]
	.loc	1 58 18 is_stmt 1               ; fp8_utils_aot.py:58:18
	;; [unrolled: 22-line block ×7, first 2 shown]
	v_ashrrev_i32_e32 v251, 31, v250
	.loc	1 67 20                         ; fp8_utils_aot.py:67:20
	s_and_b64 vcc, exec, s[24:25]
	s_cbranch_vccnz .LBB0_111
; %bb.110:
	.loc	1 58 18                         ; fp8_utils_aot.py:58:18
	v_lshl_add_u64 v[2:3], s[4:5], 0, v[250:251]
	.loc	1 67 20                         ; fp8_utils_aot.py:67:20
	global_load_ubyte v171, v[2:3], off
	s_branch .LBB0_112
.LBB0_111:
	.loc	1 0 20 is_stmt 0                ; fp8_utils_aot.py:0:20
	v_mov_b32_e32 v171, 0
.LBB0_112:
	.loc	1 67 51 is_stmt 1               ; fp8_utils_aot.py:67:51
	s_cmp_ge_i32 s46, s14
	s_cselect_b64 s[24:25], -1, 0
	.loc	1 58 48                         ; fp8_utils_aot.py:58:48
	v_lshl_add_u32 v252, s22, 5, v32
	.loc	1 67 20                         ; fp8_utils_aot.py:67:20
	s_or_b64 s[24:25], s[20:21], s[24:25]
	.loc	1 58 18                         ; fp8_utils_aot.py:58:18
	v_ashrrev_i32_e32 v253, 31, v252
	.loc	1 67 20                         ; fp8_utils_aot.py:67:20
	s_and_b64 vcc, exec, s[24:25]
	s_cbranch_vccnz .LBB0_114
; %bb.113:
	.loc	1 58 18                         ; fp8_utils_aot.py:58:18
	v_lshl_add_u64 v[2:3], s[4:5], 0, v[252:253]
	.loc	1 67 20                         ; fp8_utils_aot.py:67:20
	global_load_ubyte v172, v[2:3], off
	s_branch .LBB0_115
.LBB0_114:
	.loc	1 0 20 is_stmt 0                ; fp8_utils_aot.py:0:20
	v_mov_b32_e32 v172, 0
.LBB0_115:
	.loc	1 58 48 is_stmt 1               ; fp8_utils_aot.py:58:48
	v_mad_u64_u32 v[6:7], s[24:25], s22, 34, v[32:33]
	.loc	1 67 51                         ; fp8_utils_aot.py:67:51
	s_cmp_ge_i32 s47, s14
	s_cselect_b64 s[24:25], -1, 0
	.loc	1 67 20 is_stmt 0               ; fp8_utils_aot.py:67:20
	s_or_b64 s[24:25], s[20:21], s[24:25]
	.loc	1 58 18 is_stmt 1               ; fp8_utils_aot.py:58:18
	v_ashrrev_i32_e32 v7, 31, v6
	.loc	1 67 20                         ; fp8_utils_aot.py:67:20
	s_and_b64 vcc, exec, s[24:25]
	s_cbranch_vccnz .LBB0_117
; %bb.116:
	.loc	1 58 18                         ; fp8_utils_aot.py:58:18
	v_lshl_add_u64 v[2:3], s[4:5], 0, v[6:7]
	.loc	1 67 20                         ; fp8_utils_aot.py:67:20
	global_load_ubyte v173, v[2:3], off
	s_branch .LBB0_118
.LBB0_117:
	.loc	1 0 20 is_stmt 0                ; fp8_utils_aot.py:0:20
	v_mov_b32_e32 v173, 0
.LBB0_118:
	.loc	1 58 48 is_stmt 1               ; fp8_utils_aot.py:58:48
	v_mad_u64_u32 v[8:9], s[24:25], s22, 36, v[32:33]
	.loc	1 67 51                         ; fp8_utils_aot.py:67:51
	s_cmp_ge_i32 s48, s14
	s_cselect_b64 s[24:25], -1, 0
	.loc	1 67 20 is_stmt 0               ; fp8_utils_aot.py:67:20
	s_or_b64 s[24:25], s[20:21], s[24:25]
	.loc	1 58 18 is_stmt 1               ; fp8_utils_aot.py:58:18
	;; [unrolled: 22-line block ×15, first 2 shown]
	v_ashrrev_i32_e32 v37, 31, v36
	.loc	1 67 20                         ; fp8_utils_aot.py:67:20
	s_and_b64 vcc, exec, s[24:25]
	s_cbranch_vccnz .LBB0_159
; %bb.158:
	.loc	1 58 18                         ; fp8_utils_aot.py:58:18
	v_lshl_add_u64 v[2:3], s[4:5], 0, v[36:37]
	.loc	1 67 20                         ; fp8_utils_aot.py:67:20
	global_load_ubyte v187, v[2:3], off
	s_branch .LBB0_160
.LBB0_159:
	.loc	1 0 20 is_stmt 0                ; fp8_utils_aot.py:0:20
	v_mov_b32_e32 v187, 0
.LBB0_160:
	.loc	1 58 25 is_stmt 1               ; fp8_utils_aot.py:58:25
	s_or_b32 s23, s28, 64
	.loc	1 67 51                         ; fp8_utils_aot.py:67:51
	s_cmp_ge_i32 s23, s14
	s_cselect_b64 s[24:25], -1, 0
	.loc	1 58 48                         ; fp8_utils_aot.py:58:48
	v_lshl_add_u32 v38, s22, 6, v32
	.loc	1 67 20                         ; fp8_utils_aot.py:67:20
	s_or_b64 s[24:25], s[20:21], s[24:25]
	.loc	1 58 18                         ; fp8_utils_aot.py:58:18
	v_ashrrev_i32_e32 v39, 31, v38
	.loc	1 67 20                         ; fp8_utils_aot.py:67:20
	s_and_b64 vcc, exec, s[24:25]
	s_cbranch_vccnz .LBB0_162
; %bb.161:
	.loc	1 58 18                         ; fp8_utils_aot.py:58:18
	v_lshl_add_u64 v[2:3], s[4:5], 0, v[38:39]
	.loc	1 67 20                         ; fp8_utils_aot.py:67:20
	global_load_ubyte v188, v[2:3], off
	s_branch .LBB0_163
.LBB0_162:
	.loc	1 0 20 is_stmt 0                ; fp8_utils_aot.py:0:20
	v_mov_b32_e32 v188, 0
.LBB0_163:
	.loc	1 58 25 is_stmt 1               ; fp8_utils_aot.py:58:25
	s_or_b32 s62, s28, 0x42
	.loc	1 67 51                         ; fp8_utils_aot.py:67:51
	s_cmp_ge_i32 s62, s14
	.loc	1 58 36                         ; fp8_utils_aot.py:58:36
	s_mul_i32 s18, s22, 0x42
	.loc	1 67 51                         ; fp8_utils_aot.py:67:51
	s_cselect_b64 s[24:25], -1, 0
	.loc	1 58 48                         ; fp8_utils_aot.py:58:48
	v_add_u32_e32 v42, s18, v32
	.loc	1 67 20                         ; fp8_utils_aot.py:67:20
	s_or_b64 s[24:25], s[20:21], s[24:25]
	.loc	1 58 18                         ; fp8_utils_aot.py:58:18
	v_ashrrev_i32_e32 v43, 31, v42
	.loc	1 67 20                         ; fp8_utils_aot.py:67:20
	s_and_b64 vcc, exec, s[24:25]
	s_cbranch_vccnz .LBB0_165
; %bb.164:
	.loc	1 58 18                         ; fp8_utils_aot.py:58:18
	v_lshl_add_u64 v[2:3], s[4:5], 0, v[42:43]
	.loc	1 67 20                         ; fp8_utils_aot.py:67:20
	global_load_ubyte v189, v[2:3], off
	s_branch .LBB0_166
.LBB0_165:
	.loc	1 0 20 is_stmt 0                ; fp8_utils_aot.py:0:20
	v_mov_b32_e32 v189, 0
.LBB0_166:
	.loc	1 58 25 is_stmt 1               ; fp8_utils_aot.py:58:25
	s_or_b32 s63, s28, 0x44
	.loc	1 67 51                         ; fp8_utils_aot.py:67:51
	s_cmp_ge_i32 s63, s14
	.loc	1 58 36                         ; fp8_utils_aot.py:58:36
	s_mul_i32 s18, s22, 0x44
	.loc	1 67 51                         ; fp8_utils_aot.py:67:51
	s_cselect_b64 s[24:25], -1, 0
	.loc	1 58 48                         ; fp8_utils_aot.py:58:48
	v_add_u32_e32 v44, s18, v32
	.loc	1 67 20                         ; fp8_utils_aot.py:67:20
	s_or_b64 s[24:25], s[20:21], s[24:25]
	.loc	1 58 18                         ; fp8_utils_aot.py:58:18
	v_ashrrev_i32_e32 v45, 31, v44
	.loc	1 67 20                         ; fp8_utils_aot.py:67:20
	s_and_b64 vcc, exec, s[24:25]
	v_writelane_b32 v255, s64, 8
	s_cbranch_vccnz .LBB0_168
; %bb.167:
	.loc	1 58 18                         ; fp8_utils_aot.py:58:18
	v_lshl_add_u64 v[2:3], s[4:5], 0, v[44:45]
	.loc	1 67 20                         ; fp8_utils_aot.py:67:20
	global_load_ubyte v190, v[2:3], off
	s_branch .LBB0_169
.LBB0_168:
	.loc	1 0 20 is_stmt 0                ; fp8_utils_aot.py:0:20
	v_mov_b32_e32 v190, 0
.LBB0_169:
	.loc	1 58 25 is_stmt 1               ; fp8_utils_aot.py:58:25
	s_or_b32 s64, s28, 0x46
	.loc	1 67 51                         ; fp8_utils_aot.py:67:51
	s_cmp_ge_i32 s64, s14
	.loc	1 58 36                         ; fp8_utils_aot.py:58:36
	s_mul_i32 s18, s22, 0x46
	.loc	1 67 51                         ; fp8_utils_aot.py:67:51
	s_cselect_b64 s[24:25], -1, 0
	.loc	1 58 48                         ; fp8_utils_aot.py:58:48
	v_add_u32_e32 v46, s18, v32
	.loc	1 67 20                         ; fp8_utils_aot.py:67:20
	s_or_b64 s[24:25], s[20:21], s[24:25]
	.loc	1 58 18                         ; fp8_utils_aot.py:58:18
	v_ashrrev_i32_e32 v47, 31, v46
	.loc	1 67 20                         ; fp8_utils_aot.py:67:20
	s_and_b64 vcc, exec, s[24:25]
	v_writelane_b32 v255, s65, 9
	;; [unrolled: 28-line block ×3, first 2 shown]
	s_cbranch_vccnz .LBB0_174
; %bb.173:
	.loc	1 58 18                         ; fp8_utils_aot.py:58:18
	v_lshl_add_u64 v[2:3], s[4:5], 0, v[48:49]
	.loc	1 67 20                         ; fp8_utils_aot.py:67:20
	global_load_ubyte v192, v[2:3], off
	s_branch .LBB0_175
.LBB0_174:
	.loc	1 0 20 is_stmt 0                ; fp8_utils_aot.py:0:20
	v_mov_b32_e32 v192, 0
.LBB0_175:
	.loc	1 58 25 is_stmt 1               ; fp8_utils_aot.py:58:25
	s_or_b32 s66, s28, 0x4a
	.loc	1 67 51                         ; fp8_utils_aot.py:67:51
	s_cmp_ge_i32 s66, s14
	.loc	1 58 36                         ; fp8_utils_aot.py:58:36
	s_mul_i32 s18, s22, 0x4a
	.loc	1 67 51                         ; fp8_utils_aot.py:67:51
	s_cselect_b64 s[24:25], -1, 0
	.loc	1 58 48                         ; fp8_utils_aot.py:58:48
	v_add_u32_e32 v50, s18, v32
	.loc	1 67 20                         ; fp8_utils_aot.py:67:20
	s_or_b64 s[24:25], s[20:21], s[24:25]
	.loc	1 58 18                         ; fp8_utils_aot.py:58:18
	v_ashrrev_i32_e32 v51, 31, v50
	.loc	1 67 20                         ; fp8_utils_aot.py:67:20
	s_and_b64 vcc, exec, s[24:25]
	s_cbranch_vccnz .LBB0_177
; %bb.176:
	.loc	1 58 18                         ; fp8_utils_aot.py:58:18
	v_lshl_add_u64 v[2:3], s[4:5], 0, v[50:51]
	.loc	1 67 20                         ; fp8_utils_aot.py:67:20
	global_load_ubyte v193, v[2:3], off
	s_branch .LBB0_178
.LBB0_177:
	.loc	1 0 20 is_stmt 0                ; fp8_utils_aot.py:0:20
	v_mov_b32_e32 v193, 0
.LBB0_178:
	.loc	1 58 25 is_stmt 1               ; fp8_utils_aot.py:58:25
	s_or_b32 s67, s28, 0x4c
	.loc	1 67 51                         ; fp8_utils_aot.py:67:51
	s_cmp_ge_i32 s67, s14
	.loc	1 58 36                         ; fp8_utils_aot.py:58:36
	s_mul_i32 s18, s22, 0x4c
	.loc	1 67 51                         ; fp8_utils_aot.py:67:51
	s_cselect_b64 s[24:25], -1, 0
	.loc	1 58 48                         ; fp8_utils_aot.py:58:48
	v_add_u32_e32 v52, s18, v32
	.loc	1 67 20                         ; fp8_utils_aot.py:67:20
	s_or_b64 s[24:25], s[20:21], s[24:25]
	.loc	1 58 18                         ; fp8_utils_aot.py:58:18
	v_ashrrev_i32_e32 v53, 31, v52
	.loc	1 67 20                         ; fp8_utils_aot.py:67:20
	s_and_b64 vcc, exec, s[24:25]
	;; [unrolled: 27-line block ×4, first 2 shown]
	v_writelane_b32 v255, s70, 11
	s_cbranch_vccnz .LBB0_186
; %bb.185:
	.loc	1 58 18                         ; fp8_utils_aot.py:58:18
	v_lshl_add_u64 v[2:3], s[4:5], 0, v[112:113]
	.loc	1 67 20                         ; fp8_utils_aot.py:67:20
	global_load_ubyte v196, v[2:3], off
	s_branch .LBB0_187
.LBB0_186:
	.loc	1 0 20 is_stmt 0                ; fp8_utils_aot.py:0:20
	v_mov_b32_e32 v196, 0
.LBB0_187:
	.loc	1 58 25 is_stmt 1               ; fp8_utils_aot.py:58:25
	s_or_b32 s70, s28, 0x52
	.loc	1 67 51                         ; fp8_utils_aot.py:67:51
	s_cmp_ge_i32 s70, s14
	.loc	1 58 36                         ; fp8_utils_aot.py:58:36
	s_mul_i32 s18, s22, 0x52
	.loc	1 67 51                         ; fp8_utils_aot.py:67:51
	s_cselect_b64 s[24:25], -1, 0
	.loc	1 58 48                         ; fp8_utils_aot.py:58:48
	v_add_u32_e32 v114, s18, v32
	.loc	1 67 20                         ; fp8_utils_aot.py:67:20
	s_or_b64 s[24:25], s[20:21], s[24:25]
	.loc	1 58 18                         ; fp8_utils_aot.py:58:18
	v_ashrrev_i32_e32 v115, 31, v114
	.loc	1 67 20                         ; fp8_utils_aot.py:67:20
	s_and_b64 vcc, exec, s[24:25]
	v_writelane_b32 v255, s73, 12
	s_cbranch_vccnz .LBB0_189
; %bb.188:
	.loc	1 58 18                         ; fp8_utils_aot.py:58:18
	v_lshl_add_u64 v[2:3], s[4:5], 0, v[114:115]
	.loc	1 67 20                         ; fp8_utils_aot.py:67:20
	global_load_ubyte v197, v[2:3], off
	s_branch .LBB0_190
.LBB0_189:
	.loc	1 0 20 is_stmt 0                ; fp8_utils_aot.py:0:20
	v_mov_b32_e32 v197, 0
.LBB0_190:
	.loc	1 58 25 is_stmt 1               ; fp8_utils_aot.py:58:25
	s_or_b32 s73, s28, 0x54
	.loc	1 67 51                         ; fp8_utils_aot.py:67:51
	s_cmp_ge_i32 s73, s14
	.loc	1 58 36                         ; fp8_utils_aot.py:58:36
	s_mul_i32 s18, s22, 0x54
	.loc	1 67 51                         ; fp8_utils_aot.py:67:51
	s_cselect_b64 s[24:25], -1, 0
	.loc	1 58 48                         ; fp8_utils_aot.py:58:48
	v_add_u32_e32 v116, s18, v32
	.loc	1 67 20                         ; fp8_utils_aot.py:67:20
	s_or_b64 s[24:25], s[20:21], s[24:25]
	.loc	1 58 18                         ; fp8_utils_aot.py:58:18
	v_ashrrev_i32_e32 v117, 31, v116
	.loc	1 67 20                         ; fp8_utils_aot.py:67:20
	s_and_b64 vcc, exec, s[24:25]
	;; [unrolled: 28-line block ×9, first 2 shown]
	v_writelane_b32 v255, s85, 20
	s_cbranch_vccnz .LBB0_213
; %bb.212:
	.loc	1 58 18                         ; fp8_utils_aot.py:58:18
	v_lshl_add_u64 v[2:3], s[4:5], 0, v[130:131]
	.loc	1 67 20                         ; fp8_utils_aot.py:67:20
	global_load_ubyte v205, v[2:3], off
	s_branch .LBB0_214
.LBB0_213:
	.loc	1 0 20 is_stmt 0                ; fp8_utils_aot.py:0:20
	v_mov_b32_e32 v205, 0
.LBB0_214:
	.loc	1 58 25 is_stmt 1               ; fp8_utils_aot.py:58:25
	s_or_b32 s85, s28, 0x64
	.loc	1 67 51                         ; fp8_utils_aot.py:67:51
	s_cmp_ge_i32 s85, s14
	.loc	1 58 36                         ; fp8_utils_aot.py:58:36
	s_mul_i32 s18, s22, 0x64
	.loc	1 67 51                         ; fp8_utils_aot.py:67:51
	s_cselect_b64 s[24:25], -1, 0
	.loc	1 58 48                         ; fp8_utils_aot.py:58:48
	v_add_u32_e32 v132, s18, v32
	.loc	1 67 20                         ; fp8_utils_aot.py:67:20
	s_or_b64 s[24:25], s[20:21], s[24:25]
	v_writelane_b32 v255, s71, 21
	.loc	1 58 18                         ; fp8_utils_aot.py:58:18
	v_ashrrev_i32_e32 v133, 31, v132
	.loc	1 67 20                         ; fp8_utils_aot.py:67:20
	s_and_b64 vcc, exec, s[24:25]
	v_writelane_b32 v255, s88, 22
	s_cbranch_vccnz .LBB0_216
; %bb.215:
	.loc	1 58 18                         ; fp8_utils_aot.py:58:18
	v_lshl_add_u64 v[2:3], s[4:5], 0, v[132:133]
	.loc	1 67 20                         ; fp8_utils_aot.py:67:20
	global_load_ubyte v206, v[2:3], off
	s_branch .LBB0_217
.LBB0_216:
	.loc	1 0 20 is_stmt 0                ; fp8_utils_aot.py:0:20
	v_mov_b32_e32 v206, 0
.LBB0_217:
	.loc	1 58 25 is_stmt 1               ; fp8_utils_aot.py:58:25
	s_or_b32 s88, s28, 0x66
	.loc	1 67 51                         ; fp8_utils_aot.py:67:51
	s_cmp_ge_i32 s88, s14
	.loc	1 58 36                         ; fp8_utils_aot.py:58:36
	s_mul_i32 s18, s22, 0x66
	.loc	1 67 51                         ; fp8_utils_aot.py:67:51
	s_cselect_b64 s[24:25], -1, 0
	.loc	1 58 48                         ; fp8_utils_aot.py:58:48
	v_add_u32_e32 v134, s18, v32
	.loc	1 67 20                         ; fp8_utils_aot.py:67:20
	s_or_b64 s[24:25], s[20:21], s[24:25]
	.loc	1 58 18                         ; fp8_utils_aot.py:58:18
	v_ashrrev_i32_e32 v135, 31, v134
	.loc	1 67 20                         ; fp8_utils_aot.py:67:20
	s_and_b64 vcc, exec, s[24:25]
	v_writelane_b32 v255, s90, 23
	s_cbranch_vccnz .LBB0_219
; %bb.218:
	.loc	1 58 18                         ; fp8_utils_aot.py:58:18
	v_lshl_add_u64 v[2:3], s[4:5], 0, v[134:135]
	.loc	1 67 20                         ; fp8_utils_aot.py:67:20
	global_load_ubyte v207, v[2:3], off
	s_branch .LBB0_220
.LBB0_219:
	.loc	1 0 20 is_stmt 0                ; fp8_utils_aot.py:0:20
	v_mov_b32_e32 v207, 0
.LBB0_220:
	.loc	1 58 25 is_stmt 1               ; fp8_utils_aot.py:58:25
	s_or_b32 s90, s28, 0x68
	.loc	1 67 51                         ; fp8_utils_aot.py:67:51
	s_cmp_ge_i32 s90, s14
	.loc	1 58 36                         ; fp8_utils_aot.py:58:36
	s_mul_i32 s18, s22, 0x68
	.loc	1 67 51                         ; fp8_utils_aot.py:67:51
	s_cselect_b64 s[24:25], -1, 0
	.loc	1 58 48                         ; fp8_utils_aot.py:58:48
	v_add_u32_e32 v136, s18, v32
	.loc	1 67 20                         ; fp8_utils_aot.py:67:20
	s_or_b64 s[24:25], s[20:21], s[24:25]
	.loc	1 58 18                         ; fp8_utils_aot.py:58:18
	v_ashrrev_i32_e32 v137, 31, v136
	.loc	1 67 20                         ; fp8_utils_aot.py:67:20
	s_and_b64 vcc, exec, s[24:25]
	v_writelane_b32 v255, s91, 24
	s_cbranch_vccnz .LBB0_222
; %bb.221:
	.loc	1 58 18                         ; fp8_utils_aot.py:58:18
	v_lshl_add_u64 v[2:3], s[4:5], 0, v[136:137]
	.loc	1 67 20                         ; fp8_utils_aot.py:67:20
	global_load_ubyte v208, v[2:3], off
	s_branch .LBB0_223
.LBB0_222:
	.loc	1 0 20 is_stmt 0                ; fp8_utils_aot.py:0:20
	v_mov_b32_e32 v208, 0
.LBB0_223:
	.loc	1 58 25 is_stmt 1               ; fp8_utils_aot.py:58:25
	s_or_b32 s91, s28, 0x6a
	.loc	1 67 51                         ; fp8_utils_aot.py:67:51
	s_cmp_ge_i32 s91, s14
	.loc	1 58 36                         ; fp8_utils_aot.py:58:36
	s_mul_i32 s18, s22, 0x6a
	.loc	1 67 51                         ; fp8_utils_aot.py:67:51
	s_cselect_b64 s[24:25], -1, 0
	.loc	1 58 48                         ; fp8_utils_aot.py:58:48
	v_add_u32_e32 v138, s18, v32
	.loc	1 67 20                         ; fp8_utils_aot.py:67:20
	s_or_b64 s[24:25], s[20:21], s[24:25]
	v_writelane_b32 v255, s89, 25
	.loc	1 58 18                         ; fp8_utils_aot.py:58:18
	v_ashrrev_i32_e32 v139, 31, v138
	.loc	1 67 20                         ; fp8_utils_aot.py:67:20
	s_and_b64 vcc, exec, s[24:25]
	v_writelane_b32 v255, s93, 26
	s_cbranch_vccnz .LBB0_225
; %bb.224:
	.loc	1 58 18                         ; fp8_utils_aot.py:58:18
	v_lshl_add_u64 v[2:3], s[4:5], 0, v[138:139]
	.loc	1 67 20                         ; fp8_utils_aot.py:67:20
	global_load_ubyte v209, v[2:3], off
	s_branch .LBB0_226
.LBB0_225:
	.loc	1 0 20 is_stmt 0                ; fp8_utils_aot.py:0:20
	v_mov_b32_e32 v209, 0
.LBB0_226:
	.loc	1 58 25 is_stmt 1               ; fp8_utils_aot.py:58:25
	s_or_b32 s93, s28, 0x6c
	.loc	1 67 51                         ; fp8_utils_aot.py:67:51
	s_cmp_ge_i32 s93, s14
	.loc	1 58 36                         ; fp8_utils_aot.py:58:36
	s_mul_i32 s18, s22, 0x6c
	.loc	1 67 51                         ; fp8_utils_aot.py:67:51
	s_cselect_b64 s[24:25], -1, 0
	.loc	1 58 48                         ; fp8_utils_aot.py:58:48
	v_add_u32_e32 v140, s18, v32
	.loc	1 67 20                         ; fp8_utils_aot.py:67:20
	s_or_b64 s[24:25], s[20:21], s[24:25]
	v_writelane_b32 v255, s94, 27
	v_and_b32_e32 v219, 32, v0
	.loc	1 58 18                         ; fp8_utils_aot.py:58:18
	v_ashrrev_i32_e32 v141, 31, v140
	.loc	1 67 20                         ; fp8_utils_aot.py:67:20
	s_and_b64 vcc, exec, s[24:25]
	v_writelane_b32 v255, s6, 28
	s_cbranch_vccnz .LBB0_228
; %bb.227:
	.loc	1 58 18                         ; fp8_utils_aot.py:58:18
	v_lshl_add_u64 v[2:3], s[4:5], 0, v[140:141]
	.loc	1 67 20                         ; fp8_utils_aot.py:67:20
	global_load_ubyte v210, v[2:3], off
	s_branch .LBB0_229
.LBB0_228:
	.loc	1 0 20 is_stmt 0                ; fp8_utils_aot.py:0:20
	v_mov_b32_e32 v210, 0
.LBB0_229:
	s_lshr_b32 s6, s26, 1
	.loc	1 58 25 is_stmt 1               ; fp8_utils_aot.py:58:25
	s_or_b32 s94, s28, 0x6e
	.loc	1 67 51                         ; fp8_utils_aot.py:67:51
	s_cmp_ge_i32 s94, s14
	.loc	1 58 36                         ; fp8_utils_aot.py:58:36
	s_mul_i32 s18, s22, 0x6e
	.loc	1 67 51                         ; fp8_utils_aot.py:67:51
	s_cselect_b64 s[24:25], -1, 0
	v_writelane_b32 v255, s6, 29
	.loc	1 58 48                         ; fp8_utils_aot.py:58:48
	v_add_u32_e32 v142, s18, v32
	.loc	1 67 20                         ; fp8_utils_aot.py:67:20
	s_or_b64 s[24:25], s[20:21], s[24:25]
	v_lshrrev_b32_e32 v2, 3, v219
	.loc	1 58 18                         ; fp8_utils_aot.py:58:18
	v_ashrrev_i32_e32 v143, 31, v142
	.loc	1 67 20                         ; fp8_utils_aot.py:67:20
	s_and_b64 vcc, exec, s[24:25]
	v_writelane_b32 v255, s96, 30
	s_cbranch_vccnz .LBB0_231
; %bb.230:
	.loc	1 58 18                         ; fp8_utils_aot.py:58:18
	v_lshl_add_u64 v[4:5], s[4:5], 0, v[142:143]
	.loc	1 67 20                         ; fp8_utils_aot.py:67:20
	global_load_ubyte v211, v[4:5], off
	s_branch .LBB0_232
.LBB0_231:
	.loc	1 0 20 is_stmt 0                ; fp8_utils_aot.py:0:20
	v_mov_b32_e32 v211, 0
.LBB0_232:
	.loc	1 58 25 is_stmt 1               ; fp8_utils_aot.py:58:25
	s_or_b32 s96, s28, 0x70
	.loc	1 67 51                         ; fp8_utils_aot.py:67:51
	s_cmp_ge_i32 s96, s14
	.loc	1 58 36                         ; fp8_utils_aot.py:58:36
	s_mul_i32 s18, s22, 0x70
	.loc	1 67 51                         ; fp8_utils_aot.py:67:51
	s_cselect_b64 s[24:25], -1, 0
	v_readlane_b32 s6, v255, 29
	.loc	1 58 48                         ; fp8_utils_aot.py:58:48
	v_add_u32_e32 v144, s18, v32
	.loc	1 67 20                         ; fp8_utils_aot.py:67:20
	s_or_b64 s[24:25], s[20:21], s[24:25]
	v_and_b32_e32 v41, 31, v0
	v_or_b32_e32 v2, s6, v2
	.loc	1 58 18                         ; fp8_utils_aot.py:58:18
	v_ashrrev_i32_e32 v145, 31, v144
	.loc	1 67 20                         ; fp8_utils_aot.py:67:20
	s_and_b64 vcc, exec, s[24:25]
	v_writelane_b32 v255, s98, 31
	s_cbranch_vccnz .LBB0_234
; %bb.233:
	.loc	1 58 18                         ; fp8_utils_aot.py:58:18
	v_lshl_add_u64 v[4:5], s[4:5], 0, v[144:145]
	.loc	1 67 20                         ; fp8_utils_aot.py:67:20
	global_load_ubyte v212, v[4:5], off
	s_branch .LBB0_235
.LBB0_234:
	.loc	1 0 20 is_stmt 0                ; fp8_utils_aot.py:0:20
	v_mov_b32_e32 v212, 0
.LBB0_235:
	.loc	1 58 25 is_stmt 1               ; fp8_utils_aot.py:58:25
	s_or_b32 s98, s28, 0x72
	.loc	1 67 51                         ; fp8_utils_aot.py:67:51
	s_cmp_ge_i32 s98, s14
	v_or_b32_e32 v243, s7, v41
	.loc	1 58 36                         ; fp8_utils_aot.py:58:36
	s_mul_i32 s7, s22, 0x72
	.loc	1 67 51                         ; fp8_utils_aot.py:67:51
	s_cselect_b64 s[24:25], -1, 0
	.loc	1 58 48                         ; fp8_utils_aot.py:58:48
	v_add_u32_e32 v146, s7, v32
	.loc	1 67 20                         ; fp8_utils_aot.py:67:20
	s_or_b64 s[24:25], s[20:21], s[24:25]
	v_or_b32_e32 v2, s78, v2
	.loc	1 58 18                         ; fp8_utils_aot.py:58:18
	v_ashrrev_i32_e32 v147, 31, v146
	s_mov_b32 s72, s99
	.loc	1 67 20                         ; fp8_utils_aot.py:67:20
	s_and_b64 vcc, exec, s[24:25]
	s_cbranch_vccnz .LBB0_237
; %bb.236:
	.loc	1 58 18                         ; fp8_utils_aot.py:58:18
	v_lshl_add_u64 v[4:5], s[4:5], 0, v[146:147]
	.loc	1 67 20                         ; fp8_utils_aot.py:67:20
	global_load_ubyte v213, v[4:5], off
	s_branch .LBB0_238
.LBB0_237:
	.loc	1 0 20 is_stmt 0                ; fp8_utils_aot.py:0:20
	v_mov_b32_e32 v213, 0
.LBB0_238:
	.loc	1 58 25 is_stmt 1               ; fp8_utils_aot.py:58:25
	s_or_b32 s99, s28, 0x74
	.loc	1 67 51                         ; fp8_utils_aot.py:67:51
	s_cmp_ge_i32 s99, s14
	.loc	1 58 36                         ; fp8_utils_aot.py:58:36
	s_mul_i32 s7, s22, 0x74
	.loc	1 67 51                         ; fp8_utils_aot.py:67:51
	s_cselect_b64 s[24:25], -1, 0
	.loc	1 58 48                         ; fp8_utils_aot.py:58:48
	v_add_u32_e32 v148, s7, v32
	.loc	1 67 20                         ; fp8_utils_aot.py:67:20
	s_or_b64 s[24:25], s[20:21], s[24:25]
	v_accvgpr_write_b32 a163, v7
	v_accvgpr_write_b32 a165, v9
	;; [unrolled: 1-line block ×7, first 2 shown]
	v_or_b32_e32 v242, 32, v243
	v_add_u32_e32 v2, s12, v2
	.loc	1 58 18                         ; fp8_utils_aot.py:58:18
	v_ashrrev_i32_e32 v149, 31, v148
	.loc	1 67 20                         ; fp8_utils_aot.py:67:20
	s_and_b64 vcc, exec, s[24:25]
	v_accvgpr_write_b32 a162, v6
	v_accvgpr_write_b32 a164, v8
	;; [unrolled: 1-line block ×7, first 2 shown]
	s_cbranch_vccnz .LBB0_240
; %bb.239:
	.loc	1 58 18                         ; fp8_utils_aot.py:58:18
	v_lshl_add_u64 v[4:5], s[4:5], 0, v[148:149]
	.loc	1 67 20                         ; fp8_utils_aot.py:67:20
	global_load_ubyte v214, v[4:5], off
	s_branch .LBB0_241
.LBB0_240:
	.loc	1 0 20 is_stmt 0                ; fp8_utils_aot.py:0:20
	v_mov_b32_e32 v214, 0
.LBB0_241:
	.loc	1 58 25 is_stmt 1               ; fp8_utils_aot.py:58:25
	s_or_b32 s7, s28, 0x76
	.loc	1 67 51                         ; fp8_utils_aot.py:67:51
	s_cmp_ge_i32 s7, s14
	.loc	1 58 36                         ; fp8_utils_aot.py:58:36
	s_mul_i32 s18, s22, 0x76
	.loc	1 67 51                         ; fp8_utils_aot.py:67:51
	s_cselect_b64 s[24:25], -1, 0
	.loc	1 58 48                         ; fp8_utils_aot.py:58:48
	v_add_u32_e32 v150, s18, v32
	.loc	1 67 20                         ; fp8_utils_aot.py:67:20
	s_or_b64 s[24:25], s[20:21], s[24:25]
	v_accvgpr_write_b32 a177, v21
	v_accvgpr_write_b32 a197, v43
	;; [unrolled: 1-line block ×8, first 2 shown]
	v_add_u32_e32 v18, s97, v243
	v_add_u32_e32 v19, s97, v242
	;; [unrolled: 1-line block ×17, first 2 shown]
	.loc	1 58 18                         ; fp8_utils_aot.py:58:18
	v_ashrrev_i32_e32 v151, 31, v150
	.loc	1 67 20                         ; fp8_utils_aot.py:67:20
	s_and_b64 vcc, exec, s[24:25]
	v_writelane_b32 v255, s78, 32
	v_accvgpr_write_b32 a176, v20
	v_accvgpr_write_b32 a196, v42
	;; [unrolled: 1-line block ×8, first 2 shown]
	s_cbranch_vccnz .LBB0_243
; %bb.242:
	.loc	1 58 18                         ; fp8_utils_aot.py:58:18
	v_lshl_add_u64 v[20:21], s[4:5], 0, v[150:151]
	.loc	1 67 20                         ; fp8_utils_aot.py:67:20
	global_load_ubyte v215, v[20:21], off
	s_branch .LBB0_244
.LBB0_243:
	.loc	1 0 20 is_stmt 0                ; fp8_utils_aot.py:0:20
	v_mov_b32_e32 v215, 0
.LBB0_244:
	.loc	1 58 25 is_stmt 1               ; fp8_utils_aot.py:58:25
	s_or_b32 s78, s28, 0x78
	.loc	1 67 51                         ; fp8_utils_aot.py:67:51
	s_cmp_ge_i32 s78, s14
	.loc	1 58 36                         ; fp8_utils_aot.py:58:36
	s_mul_i32 s18, s22, 0x78
	.loc	1 67 51                         ; fp8_utils_aot.py:67:51
	s_cselect_b64 s[24:25], -1, 0
	.loc	1 58 48                         ; fp8_utils_aot.py:58:48
	v_add_u32_e32 v152, s18, v32
	.loc	1 67 20                         ; fp8_utils_aot.py:67:20
	s_or_b64 s[24:25], s[20:21], s[24:25]
	v_accvgpr_write_b32 a179, v23
	v_accvgpr_write_b32 a181, v25
	;; [unrolled: 1-line block ×8, first 2 shown]
	v_xor_b32_e32 v59, s97, v18
	v_xor_b32_e32 v58, s97, v19
	;; [unrolled: 1-line block ×18, first 2 shown]
	.loc	1 58 18                         ; fp8_utils_aot.py:58:18
	v_ashrrev_i32_e32 v153, 31, v152
	.loc	1 67 20                         ; fp8_utils_aot.py:67:20
	s_and_b64 vcc, exec, s[24:25]
	v_accvgpr_write_b32 a178, v22
	v_accvgpr_write_b32 a180, v24
	;; [unrolled: 1-line block ×8, first 2 shown]
	s_mov_b32 s95, s83
	s_cbranch_vccnz .LBB0_246
; %bb.245:
	.loc	1 58 18                         ; fp8_utils_aot.py:58:18
	v_lshl_add_u64 v[2:3], s[4:5], 0, v[152:153]
	.loc	1 67 20                         ; fp8_utils_aot.py:67:20
	global_load_ubyte v216, v[2:3], off
	s_branch .LBB0_247
.LBB0_246:
	.loc	1 0 20 is_stmt 0                ; fp8_utils_aot.py:0:20
	v_mov_b32_e32 v216, 0
.LBB0_247:
	.loc	1 58 25 is_stmt 1               ; fp8_utils_aot.py:58:25
	s_or_b32 s83, s28, 0x7a
	v_mad_u64_u32 v[38:39], s[24:25], v59, s40, 0
	v_mad_u64_u32 v[36:37], s[24:25], v58, s40, 0
	;; [unrolled: 1-line block ×18, first 2 shown]
	.loc	1 67 51                         ; fp8_utils_aot.py:67:51
	s_cmp_ge_i32 s83, s14
	.loc	1 58 36                         ; fp8_utils_aot.py:58:36
	s_mul_i32 s18, s22, 0x7a
	.loc	1 67 51                         ; fp8_utils_aot.py:67:51
	s_cselect_b64 s[24:25], -1, 0
	.loc	1 58 48                         ; fp8_utils_aot.py:58:48
	v_add_u32_e32 v154, s18, v32
	.loc	1 67 20                         ; fp8_utils_aot.py:67:20
	s_or_b64 s[24:25], s[20:21], s[24:25]
	.loc	1 58 18                         ; fp8_utils_aot.py:58:18
	v_ashrrev_i32_e32 v155, 31, v154
	s_mov_b32 s71, s86
	.loc	1 67 20                         ; fp8_utils_aot.py:67:20
	s_and_b64 vcc, exec, s[24:25]
	s_cbranch_vccnz .LBB0_249
; %bb.248:
	.loc	1 58 18                         ; fp8_utils_aot.py:58:18
	v_lshl_add_u64 v[98:99], s[4:5], 0, v[154:155]
	.loc	1 67 20                         ; fp8_utils_aot.py:67:20
	global_load_ubyte v40, v[98:99], off
	s_branch .LBB0_250
.LBB0_249:
	.loc	1 0 20 is_stmt 0                ; fp8_utils_aot.py:0:20
	v_mov_b32_e32 v40, 0
.LBB0_250:
	.loc	1 58 25 is_stmt 1               ; fp8_utils_aot.py:58:25
	s_or_b32 s86, s28, 0x7c
	.loc	1 67 51                         ; fp8_utils_aot.py:67:51
	s_cmp_ge_i32 s86, s14
	.loc	1 58 36                         ; fp8_utils_aot.py:58:36
	s_mul_i32 s18, s22, 0x7c
	.loc	1 67 51                         ; fp8_utils_aot.py:67:51
	s_cselect_b64 s[24:25], -1, 0
	.loc	1 58 48                         ; fp8_utils_aot.py:58:48
	v_add_u32_e32 v156, s18, v32
	.loc	1 67 20                         ; fp8_utils_aot.py:67:20
	s_or_b64 s[24:25], s[20:21], s[24:25]
	.loc	1 58 18                         ; fp8_utils_aot.py:58:18
	v_ashrrev_i32_e32 v157, 31, v156
	s_mov_b32 s89, s92
	.loc	1 67 20                         ; fp8_utils_aot.py:67:20
	s_and_b64 vcc, exec, s[24:25]
	s_cbranch_vccnz .LBB0_252
; %bb.251:
	.loc	1 58 18                         ; fp8_utils_aot.py:58:18
	v_lshl_add_u64 v[98:99], s[4:5], 0, v[156:157]
	.loc	1 67 20                         ; fp8_utils_aot.py:67:20
	global_load_ubyte v217, v[98:99], off
	s_branch .LBB0_253
.LBB0_252:
	.loc	1 0 20 is_stmt 0                ; fp8_utils_aot.py:0:20
	v_mov_b32_e32 v217, 0
.LBB0_253:
	s_load_dword s25, s[0:1], 0x54
	s_load_dword s24, s[0:1], 0x60
	.loc	1 58 25 is_stmt 1               ; fp8_utils_aot.py:58:25
	s_or_b32 s92, s28, 0x7e
	.loc	1 67 51                         ; fp8_utils_aot.py:67:51
	s_cmp_ge_i32 s92, s14
	.loc	1 58 36                         ; fp8_utils_aot.py:58:36
	s_mul_i32 s18, s22, 0x7e
	.loc	1 67 51                         ; fp8_utils_aot.py:67:51
	s_cselect_b64 vcc, -1, 0
	.loc	1 58 48                         ; fp8_utils_aot.py:58:48
	v_add_u32_e32 v158, s18, v32
	.loc	1 67 20                         ; fp8_utils_aot.py:67:20
	s_or_b64 s[20:21], s[20:21], vcc
	v_or_b32_e32 v1, s26, v1
	.loc	1 58 18                         ; fp8_utils_aot.py:58:18
	v_ashrrev_i32_e32 v159, 31, v158
	s_mov_b32 s6, s80
	.loc	1 67 20                         ; fp8_utils_aot.py:67:20
	s_and_b64 vcc, exec, s[20:21]
	s_cbranch_vccnz .LBB0_255
; %bb.254:
	.loc	1 58 18                         ; fp8_utils_aot.py:58:18
	v_lshl_add_u64 v[98:99], s[4:5], 0, v[158:159]
	.loc	1 67 20                         ; fp8_utils_aot.py:67:20
	global_load_ubyte v218, v[98:99], off
	s_branch .LBB0_256
.LBB0_255:
	.loc	1 0 20 is_stmt 0                ; fp8_utils_aot.py:0:20
	v_mov_b32_e32 v218, 0
.LBB0_256:
	.loc	1 54 68 is_stmt 1               ; fp8_utils_aot.py:54:68
	v_mul_lo_u32 v2, v39, s27
	v_sub_u32_e32 v2, v59, v2
	v_subrev_u32_e32 v4, s27, v2
	v_cmp_le_u32_e32 vcc, s27, v2
	.loc	1 55 68                         ; fp8_utils_aot.py:55:68
	v_mul_lo_u32 v19, v19, s75
	v_sub_u32_e32 v19, v50, v19
	.loc	1 54 68                         ; fp8_utils_aot.py:54:68
	v_cndmask_b32_e32 v2, v2, v4, vcc
	v_subrev_u32_e32 v4, s27, v2
	v_cmp_le_u32_e32 vcc, s27, v2
	.loc	1 55 68                         ; fp8_utils_aot.py:55:68
	v_mul_lo_u32 v17, v17, s75
	v_sub_u32_e32 v17, v49, v17
	.loc	1 54 68                         ; fp8_utils_aot.py:54:68
	v_cndmask_b32_e32 v2, v2, v4, vcc
	v_mul_lo_u32 v4, v37, s27
	v_sub_u32_e32 v4, v58, v4
	v_subrev_u32_e32 v6, s27, v4
	v_cmp_le_u32_e32 vcc, s27, v4
	.loc	1 55 68                         ; fp8_utils_aot.py:55:68
	v_mul_lo_u32 v15, v15, s75
	v_sub_u32_e32 v15, v48, v15
	.loc	1 54 68                         ; fp8_utils_aot.py:54:68
	v_cndmask_b32_e32 v4, v4, v6, vcc
	v_subrev_u32_e32 v6, s27, v4
	v_cmp_le_u32_e32 vcc, s27, v4
	.loc	1 55 68                         ; fp8_utils_aot.py:55:68
	v_mul_lo_u32 v13, v13, s75
	v_sub_u32_e32 v13, v47, v13
	.loc	1 54 68                         ; fp8_utils_aot.py:54:68
	v_cndmask_b32_e32 v4, v4, v6, vcc
	.loc	1 55 68                         ; fp8_utils_aot.py:55:68
	v_mul_lo_u32 v6, v35, s75
	v_sub_u32_e32 v6, v57, v6
	v_subrev_u32_e32 v8, s75, v6
	v_cmp_le_u32_e32 vcc, s75, v6
	v_mul_lo_u32 v11, v11, s75
	v_sub_u32_e32 v11, v46, v11
	v_cndmask_b32_e32 v6, v6, v8, vcc
	v_subrev_u32_e32 v8, s75, v6
	v_cmp_le_u32_e32 vcc, s75, v6
	v_mul_lo_u32 v9, v9, s75
	v_sub_u32_e32 v9, v45, v9
	v_cndmask_b32_e32 v6, v6, v8, vcc
	v_mul_lo_u32 v8, v31, s75
	v_sub_u32_e32 v8, v56, v8
	v_subrev_u32_e32 v10, s75, v8
	v_cmp_le_u32_e32 vcc, s75, v8
	v_mul_lo_u32 v7, v7, s75
	v_sub_u32_e32 v7, v44, v7
	v_cndmask_b32_e32 v8, v8, v10, vcc
	v_subrev_u32_e32 v10, s75, v8
	v_cmp_le_u32_e32 vcc, s75, v8
	v_mul_lo_u32 v5, v5, s75
	v_sub_u32_e32 v5, v43, v5
	v_cndmask_b32_e32 v8, v8, v10, vcc
	v_mul_lo_u32 v10, v29, s75
	v_sub_u32_e32 v10, v55, v10
	v_subrev_u32_e32 v12, s75, v10
	v_cmp_le_u32_e32 vcc, s75, v10
	v_mul_lo_u32 v3, v3, s75
	v_sub_u32_e32 v3, v42, v3
	v_cndmask_b32_e32 v10, v10, v12, vcc
	v_subrev_u32_e32 v12, s75, v10
	v_cmp_le_u32_e32 vcc, s75, v10
	v_xor_b32_e32 v6, s12, v6
	v_xor_b32_e32 v8, s12, v8
	v_cndmask_b32_e32 v10, v10, v12, vcc
	v_mul_lo_u32 v12, v27, s75
	v_sub_u32_e32 v12, v54, v12
	v_subrev_u32_e32 v14, s75, v12
	v_cmp_le_u32_e32 vcc, s75, v12
	v_xor_b32_e32 v10, s12, v10
	v_subrev_u32_e32 v6, s12, v6
	v_cndmask_b32_e32 v12, v12, v14, vcc
	v_subrev_u32_e32 v14, s75, v12
	v_cmp_le_u32_e32 vcc, s75, v12
	v_subrev_u32_e32 v8, s12, v8
	v_subrev_u32_e32 v10, s12, v10
	v_cndmask_b32_e32 v12, v12, v14, vcc
	v_mul_lo_u32 v14, v25, s75
	v_sub_u32_e32 v14, v53, v14
	v_subrev_u32_e32 v16, s75, v14
	v_cmp_le_u32_e32 vcc, s75, v14
	v_xor_b32_e32 v12, s12, v12
	v_subrev_u32_e32 v12, s12, v12
	v_cndmask_b32_e32 v14, v14, v16, vcc
	v_subrev_u32_e32 v16, s75, v14
	v_cmp_le_u32_e32 vcc, s75, v14
	.loc	1 61 26                         ; fp8_utils_aot.py:61:26
	v_sub_u32_e32 v24, 0, v6
	s_ashr_i32 s20, s15, 31
	.loc	1 55 68                         ; fp8_utils_aot.py:55:68
	v_cndmask_b32_e32 v14, v14, v16, vcc
	v_mul_lo_u32 v16, v23, s75
	v_sub_u32_e32 v16, v52, v16
	v_subrev_u32_e32 v18, s75, v16
	v_cmp_le_u32_e32 vcc, s75, v16
	v_xor_b32_e32 v14, s12, v14
	v_subrev_u32_e32 v14, s12, v14
	v_cndmask_b32_e32 v16, v16, v18, vcc
	v_subrev_u32_e32 v18, s75, v16
	v_cmp_le_u32_e32 vcc, s75, v16
	.loc	1 61 26                         ; fp8_utils_aot.py:61:26
	v_ashrrev_i32_e32 v23, 31, v6
	v_max_i32_e32 v6, v24, v6
	.loc	1 55 68                         ; fp8_utils_aot.py:55:68
	v_cndmask_b32_e32 v16, v16, v18, vcc
	v_mul_lo_u32 v18, v21, s75
	v_sub_u32_e32 v18, v51, v18
	v_subrev_u32_e32 v20, s75, v18
	v_cmp_le_u32_e32 vcc, s75, v18
	v_xor_b32_e32 v16, s12, v16
	v_subrev_u32_e32 v16, s12, v16
	v_cndmask_b32_e32 v18, v18, v20, vcc
	v_subrev_u32_e32 v20, s75, v18
	v_cmp_le_u32_e32 vcc, s75, v18
	.loc	1 61 26                         ; fp8_utils_aot.py:61:26
	v_xor_b32_e32 v23, s20, v23
	v_xor_b32_e32 v42, 16, v1
	.loc	1 55 68                         ; fp8_utils_aot.py:55:68
	v_cndmask_b32_e32 v18, v18, v20, vcc
	v_subrev_u32_e32 v20, s75, v19
	v_cmp_le_u32_e32 vcc, s75, v19
	v_xor_b32_e32 v18, s12, v18
	v_subrev_u32_e32 v18, s12, v18
	v_cndmask_b32_e32 v19, v19, v20, vcc
	v_subrev_u32_e32 v20, s75, v19
	v_cmp_le_u32_e32 vcc, s75, v19
	.loc	1 66 20                         ; fp8_utils_aot.py:66:20
	v_add_u32_e32 v254, 0, v42
	v_xor_b32_e32 v42, 32, v1
	.loc	1 55 68                         ; fp8_utils_aot.py:55:68
	v_cndmask_b32_e32 v19, v19, v20, vcc
	v_subrev_u32_e32 v20, s75, v17
	v_cmp_le_u32_e32 vcc, s75, v17
	v_xor_b32_e32 v19, s12, v19
	v_subrev_u32_e32 v19, s12, v19
	v_cndmask_b32_e32 v17, v17, v20, vcc
	v_subrev_u32_e32 v20, s75, v17
	v_cmp_le_u32_e32 vcc, s75, v17
	.loc	1 66 20                         ; fp8_utils_aot.py:66:20
	v_add_u32_e32 v92, 0, v42
	v_xor_b32_e32 v42, 48, v1
	.loc	1 55 68                         ; fp8_utils_aot.py:55:68
	v_cndmask_b32_e32 v17, v17, v20, vcc
	v_subrev_u32_e32 v20, s75, v15
	v_cmp_le_u32_e32 vcc, s75, v15
	v_xor_b32_e32 v17, s12, v17
	v_subrev_u32_e32 v17, s12, v17
	v_cndmask_b32_e32 v15, v15, v20, vcc
	v_subrev_u32_e32 v20, s75, v15
	v_cmp_le_u32_e32 vcc, s75, v15
	s_load_dword s80, s[0:1], 0x38
	.loc	1 66 20                         ; fp8_utils_aot.py:66:20
	v_add_u32_e32 v95, 0, v42
	.loc	1 55 68                         ; fp8_utils_aot.py:55:68
	v_cndmask_b32_e32 v15, v15, v20, vcc
	v_subrev_u32_e32 v20, s75, v13
	v_cmp_le_u32_e32 vcc, s75, v13
	v_xor_b32_e32 v15, s12, v15
	v_subrev_u32_e32 v15, s12, v15
	v_cndmask_b32_e32 v13, v13, v20, vcc
	v_subrev_u32_e32 v20, s75, v13
	v_cmp_le_u32_e32 vcc, s75, v13
	v_xor_b32_e32 v42, 64, v1
	.loc	1 54 68                         ; fp8_utils_aot.py:54:68
	v_xor_b32_e32 v2, s97, v2
	.loc	1 55 68                         ; fp8_utils_aot.py:55:68
	v_cndmask_b32_e32 v13, v13, v20, vcc
	v_subrev_u32_e32 v20, s75, v11
	v_cmp_le_u32_e32 vcc, s75, v11
	v_xor_b32_e32 v13, s12, v13
	v_subrev_u32_e32 v13, s12, v13
	v_cndmask_b32_e32 v11, v11, v20, vcc
	v_subrev_u32_e32 v20, s75, v11
	v_cmp_le_u32_e32 vcc, s75, v11
	.loc	1 54 68                         ; fp8_utils_aot.py:54:68
	v_xor_b32_e32 v4, s97, v4
	.loc	1 66 20                         ; fp8_utils_aot.py:66:20
	v_add_u32_e32 v98, 0, v42
	.loc	1 55 68                         ; fp8_utils_aot.py:55:68
	v_cndmask_b32_e32 v11, v11, v20, vcc
	v_subrev_u32_e32 v20, s75, v9
	v_cmp_le_u32_e32 vcc, s75, v9
	v_xor_b32_e32 v11, s12, v11
	v_subrev_u32_e32 v11, s12, v11
	v_cndmask_b32_e32 v9, v9, v20, vcc
	v_subrev_u32_e32 v20, s75, v9
	v_cmp_le_u32_e32 vcc, s75, v9
	v_xor_b32_e32 v42, 0x50, v1
	.loc	1 54 68                         ; fp8_utils_aot.py:54:68
	v_subrev_u32_e32 v2, s97, v2
	.loc	1 55 68                         ; fp8_utils_aot.py:55:68
	v_cndmask_b32_e32 v9, v9, v20, vcc
	v_subrev_u32_e32 v20, s75, v7
	v_cmp_le_u32_e32 vcc, s75, v7
	v_xor_b32_e32 v9, s12, v9
	v_subrev_u32_e32 v9, s12, v9
	v_cndmask_b32_e32 v7, v7, v20, vcc
	v_subrev_u32_e32 v20, s75, v7
	v_cmp_le_u32_e32 vcc, s75, v7
	.loc	1 54 68                         ; fp8_utils_aot.py:54:68
	v_subrev_u32_e32 v4, s97, v4
	.loc	1 66 20                         ; fp8_utils_aot.py:66:20
	v_add_u32_e32 v91, 0, v1
	.loc	1 55 68                         ; fp8_utils_aot.py:55:68
	v_cndmask_b32_e32 v7, v7, v20, vcc
	v_subrev_u32_e32 v20, s75, v5
	v_cmp_le_u32_e32 vcc, s75, v5
	v_xor_b32_e32 v7, s12, v7
	v_subrev_u32_e32 v7, s12, v7
	v_cndmask_b32_e32 v5, v5, v20, vcc
	v_subrev_u32_e32 v20, s75, v5
	v_cmp_le_u32_e32 vcc, s75, v5
	.loc	1 66 20                         ; fp8_utils_aot.py:66:20
	v_add_u32_e32 v99, 0, v42
	v_xor_b32_e32 v42, 0x60, v1
	.loc	1 55 68                         ; fp8_utils_aot.py:55:68
	v_cndmask_b32_e32 v5, v5, v20, vcc
	v_xor_b32_e32 v5, s12, v5
	v_subrev_u32_e32 v20, s12, v5
	v_subrev_u32_e32 v5, s75, v3
	v_cmp_le_u32_e32 vcc, s75, v3
	v_xor_b32_e32 v1, 0x70, v1
	.loc	1 60 29                         ; fp8_utils_aot.py:60:29
	s_waitcnt lgkmcnt(0)
	v_mul_lo_u32 v2, v2, s25
	.loc	1 55 68                         ; fp8_utils_aot.py:55:68
	v_cndmask_b32_e32 v3, v3, v5, vcc
	v_subrev_u32_e32 v5, s75, v3
	v_cmp_le_u32_e32 vcc, s75, v3
	.loc	1 60 29                         ; fp8_utils_aot.py:60:29
	v_mul_lo_u32 v4, v4, s25
	.loc	1 66 20                         ; fp8_utils_aot.py:66:20
	v_add_u32_e32 v100, 0, v42
	.loc	1 55 68                         ; fp8_utils_aot.py:55:68
	v_cndmask_b32_e32 v3, v3, v5, vcc
	v_xor_b32_e32 v3, s12, v3
	v_subrev_u32_e32 v21, s12, v3
	.loc	1 61 26                         ; fp8_utils_aot.py:61:26
	s_abs_i32 s12, s15
	v_cvt_f32_u32_e32 v22, s12
	s_sub_i32 s18, 0, s12
	.loc	1 66 20                         ; fp8_utils_aot.py:66:20
	v_add_u32_e32 v101, 0, v1
	.loc	1 60 19                         ; fp8_utils_aot.py:60:19
	v_ashrrev_i32_e32 v3, 31, v2
	.loc	1 61 26                         ; fp8_utils_aot.py:61:26
	v_rcp_iflag_f32_e32 v22, v22
	.loc	1 60 19                         ; fp8_utils_aot.py:60:19
	v_ashrrev_i32_e32 v5, 31, v4
	s_mov_b32 s15, 0
	.loc	1 66 20                         ; fp8_utils_aot.py:66:20
	s_waitcnt vmcnt(0)
	ds_write_b8 v91, v61 offset:16384
	ds_write_b8 v91, v69 offset:18432
	;; [unrolled: 1-line block ×4, first 2 shown]
	.loc	1 61 26                         ; fp8_utils_aot.py:61:26
	v_mul_f32_e32 v22, 0x4f7ffffe, v22
	v_cvt_u32_f32_e32 v22, v22
	.loc	1 66 20                         ; fp8_utils_aot.py:66:20
	ds_write_b8 v254, v60 offset:16640
	ds_write_b8 v254, v68 offset:18688
	;; [unrolled: 1-line block ×12, first 2 shown]
	.loc	1 61 26                         ; fp8_utils_aot.py:61:26
	v_mul_lo_u32 v24, s18, v22
	v_mul_hi_u32 v24, v22, v24
	v_add_u32_e32 v22, v22, v24
	v_mul_hi_u32 v24, v6, v22
	v_mul_lo_u32 v25, v24, s12
	v_sub_u32_e32 v6, v6, v25
	v_add_u32_e32 v25, 1, v24
	v_cmp_le_u32_e32 vcc, s12, v6
	.loc	1 66 20                         ; fp8_utils_aot.py:66:20
	ds_write_b8 v98, v65 offset:17408
	ds_write_b8 v98, v74 offset:19456
	;; [unrolled: 1-line block ×4, first 2 shown]
	.loc	1 61 26                         ; fp8_utils_aot.py:61:26
	v_cndmask_b32_e32 v24, v24, v25, vcc
	v_subrev_u32_e32 v25, s12, v6
	v_cndmask_b32_e32 v6, v6, v25, vcc
	v_add_u32_e32 v25, 1, v24
	v_cmp_le_u32_e32 vcc, s12, v6
	.loc	1 66 20                         ; fp8_utils_aot.py:66:20
	ds_write_b8 v99, v64 offset:17664
	ds_write_b8 v99, v72 offset:19712
	;; [unrolled: 1-line block ×4, first 2 shown]
	.loc	1 61 26                         ; fp8_utils_aot.py:61:26
	v_cndmask_b32_e32 v6, v24, v25, vcc
	v_xor_b32_e32 v6, v6, v23
	v_sub_u32_e32 v24, 0, v8
	v_sub_u32_e32 v6, v6, v23
	v_ashrrev_i32_e32 v23, 31, v8
	v_max_i32_e32 v8, v24, v8
	v_mul_hi_u32 v24, v8, v22
	v_mul_lo_u32 v25, v24, s12
	v_sub_u32_e32 v8, v8, v25
	v_add_u32_e32 v25, 1, v24
	v_cmp_le_u32_e32 vcc, s12, v8
	v_xor_b32_e32 v23, s20, v23
	.loc	1 62 30                         ; fp8_utils_aot.py:62:30
	v_mul_lo_u32 v6, v6, s24
	.loc	1 61 26                         ; fp8_utils_aot.py:61:26
	v_cndmask_b32_e32 v24, v24, v25, vcc
	v_subrev_u32_e32 v25, s12, v8
	v_cndmask_b32_e32 v8, v8, v25, vcc
	v_add_u32_e32 v25, 1, v24
	v_cmp_le_u32_e32 vcc, s12, v8
	.loc	1 66 20                         ; fp8_utils_aot.py:66:20
	ds_write_b8 v100, v67 offset:17920
	ds_write_b8 v100, v76 offset:19968
	;; [unrolled: 1-line block ×4, first 2 shown]
	.loc	1 61 26                         ; fp8_utils_aot.py:61:26
	v_cndmask_b32_e32 v8, v24, v25, vcc
	v_xor_b32_e32 v8, v8, v23
	v_sub_u32_e32 v24, 0, v10
	v_sub_u32_e32 v8, v8, v23
	v_ashrrev_i32_e32 v23, 31, v10
	v_max_i32_e32 v10, v24, v10
	v_mul_hi_u32 v24, v10, v22
	v_mul_lo_u32 v25, v24, s12
	v_sub_u32_e32 v10, v10, v25
	v_add_u32_e32 v25, 1, v24
	v_cmp_le_u32_e32 vcc, s12, v10
	v_xor_b32_e32 v23, s20, v23
	.loc	1 62 30                         ; fp8_utils_aot.py:62:30
	v_mul_lo_u32 v8, v8, s24
	.loc	1 61 26                         ; fp8_utils_aot.py:61:26
	v_cndmask_b32_e32 v24, v24, v25, vcc
	v_subrev_u32_e32 v25, s12, v10
	v_cndmask_b32_e32 v10, v10, v25, vcc
	v_add_u32_e32 v25, 1, v24
	v_cmp_le_u32_e32 vcc, s12, v10
	.loc	1 66 20                         ; fp8_utils_aot.py:66:20
	ds_write_b8 v101, v66 offset:18176
	ds_write_b8 v101, v75 offset:20224
	;; [unrolled: 1-line block ×4, first 2 shown]
	.loc	1 67 20                         ; fp8_utils_aot.py:67:20
	ds_write_b8 v91, v96
	ds_write_b8 v91, v164 offset:2048
	ds_write_b8 v91, v172 offset:4096
	;; [unrolled: 1-line block ×63, first 2 shown]
	.loc	1 61 26                         ; fp8_utils_aot.py:61:26
	v_cndmask_b32_e32 v10, v24, v25, vcc
	v_xor_b32_e32 v10, v10, v23
	v_sub_u32_e32 v24, 0, v12
	v_sub_u32_e32 v10, v10, v23
	v_ashrrev_i32_e32 v23, 31, v12
	v_max_i32_e32 v12, v24, v12
	v_mul_hi_u32 v24, v12, v22
	v_mul_lo_u32 v25, v24, s12
	v_sub_u32_e32 v12, v12, v25
	v_add_u32_e32 v25, 1, v24
	v_cmp_le_u32_e32 vcc, s12, v12
	v_xor_b32_e32 v23, s20, v23
	.loc	1 62 30                         ; fp8_utils_aot.py:62:30
	v_mul_lo_u32 v10, v10, s24
	.loc	1 61 26                         ; fp8_utils_aot.py:61:26
	v_cndmask_b32_e32 v24, v24, v25, vcc
	v_subrev_u32_e32 v25, s12, v12
	v_cndmask_b32_e32 v12, v12, v25, vcc
	v_add_u32_e32 v25, 1, v24
	v_cmp_le_u32_e32 vcc, s12, v12
	.loc	1 65 22                         ; fp8_utils_aot.py:65:22
	s_cmpk_gt_i32 s87, 0xff
	v_readfirstlane_b32 s97, v0
	.loc	1 61 26                         ; fp8_utils_aot.py:61:26
	v_cndmask_b32_e32 v12, v24, v25, vcc
	v_xor_b32_e32 v12, v12, v23
	v_sub_u32_e32 v24, 0, v14
	v_sub_u32_e32 v12, v12, v23
	v_ashrrev_i32_e32 v23, 31, v14
	v_max_i32_e32 v14, v24, v14
	v_mul_hi_u32 v24, v14, v22
	v_mul_lo_u32 v25, v24, s12
	v_sub_u32_e32 v14, v14, v25
	v_add_u32_e32 v25, 1, v24
	v_cmp_le_u32_e32 vcc, s12, v14
	v_xor_b32_e32 v23, s20, v23
	.loc	1 62 30                         ; fp8_utils_aot.py:62:30
	v_mul_lo_u32 v12, v12, s24
	.loc	1 61 26                         ; fp8_utils_aot.py:61:26
	v_cndmask_b32_e32 v24, v24, v25, vcc
	v_subrev_u32_e32 v25, s12, v14
	v_cndmask_b32_e32 v14, v14, v25, vcc
	v_add_u32_e32 v25, 1, v24
	v_cmp_le_u32_e32 vcc, s12, v14
	v_readfirstlane_b32 s40, v0
	v_lshlrev_b32_e32 v43, 7, v41
	v_cndmask_b32_e32 v14, v24, v25, vcc
	v_xor_b32_e32 v14, v14, v23
	v_sub_u32_e32 v24, 0, v16
	v_sub_u32_e32 v14, v14, v23
	v_ashrrev_i32_e32 v23, 31, v16
	v_max_i32_e32 v16, v24, v16
	v_mul_hi_u32 v24, v16, v22
	v_mul_lo_u32 v25, v24, s12
	v_sub_u32_e32 v16, v16, v25
	v_add_u32_e32 v25, 1, v24
	v_cmp_le_u32_e32 vcc, s12, v16
	v_xor_b32_e32 v23, s20, v23
	.loc	1 62 30                         ; fp8_utils_aot.py:62:30
	v_mul_lo_u32 v14, v14, s24
	.loc	1 61 26                         ; fp8_utils_aot.py:61:26
	v_cndmask_b32_e32 v24, v24, v25, vcc
	v_subrev_u32_e32 v25, s12, v16
	v_cndmask_b32_e32 v16, v16, v25, vcc
	v_add_u32_e32 v25, 1, v24
	v_cmp_le_u32_e32 vcc, s12, v16
	v_lshlrev_b32_e32 v40, 3, v0
	v_lshrrev_b32_e32 v44, 1, v219
	v_cndmask_b32_e32 v16, v24, v25, vcc
	v_xor_b32_e32 v16, v16, v23
	v_sub_u32_e32 v24, 0, v18
	v_sub_u32_e32 v16, v16, v23
	v_ashrrev_i32_e32 v23, 31, v18
	v_max_i32_e32 v18, v24, v18
	v_mul_hi_u32 v24, v18, v22
	v_mul_lo_u32 v25, v24, s12
	v_sub_u32_e32 v18, v18, v25
	v_add_u32_e32 v25, 1, v24
	v_cmp_le_u32_e32 vcc, s12, v18
	v_xor_b32_e32 v23, s20, v23
	.loc	1 62 30                         ; fp8_utils_aot.py:62:30
	v_mul_lo_u32 v16, v16, s24
	.loc	1 61 26                         ; fp8_utils_aot.py:61:26
	v_cndmask_b32_e32 v24, v24, v25, vcc
	v_subrev_u32_e32 v25, s12, v18
	v_cndmask_b32_e32 v18, v18, v25, vcc
	v_add_u32_e32 v25, 1, v24
	v_cmp_le_u32_e32 vcc, s12, v18
	v_lshlrev_b32_e32 v41, 6, v0
	v_lshlrev_b32_e32 v42, 2, v0
	v_cndmask_b32_e32 v18, v24, v25, vcc
	v_xor_b32_e32 v18, v18, v23
	v_sub_u32_e32 v24, 0, v19
	v_sub_u32_e32 v18, v18, v23
	v_ashrrev_i32_e32 v23, 31, v19
	v_max_i32_e32 v19, v24, v19
	v_mul_hi_u32 v24, v19, v22
	v_mul_lo_u32 v25, v24, s12
	v_sub_u32_e32 v19, v19, v25
	v_add_u32_e32 v25, 1, v24
	v_cmp_le_u32_e32 vcc, s12, v19
	v_xor_b32_e32 v23, s20, v23
	.loc	1 62 30                         ; fp8_utils_aot.py:62:30
	v_mul_lo_u32 v18, v18, s24
	.loc	1 61 26                         ; fp8_utils_aot.py:61:26
	v_cndmask_b32_e32 v24, v24, v25, vcc
	v_subrev_u32_e32 v25, s12, v19
	v_cndmask_b32_e32 v19, v19, v25, vcc
	v_add_u32_e32 v25, 1, v24
	v_cmp_le_u32_e32 vcc, s12, v19
	v_and_b32_e32 v1, 16, v0
	v_accvgpr_write_b32 a184, v219
	v_cndmask_b32_e32 v19, v24, v25, vcc
	v_xor_b32_e32 v19, v19, v23
	v_sub_u32_e32 v24, 0, v17
	v_sub_u32_e32 v19, v19, v23
	v_ashrrev_i32_e32 v23, 31, v17
	v_max_i32_e32 v17, v24, v17
	v_mul_hi_u32 v24, v17, v22
	v_mul_lo_u32 v25, v24, s12
	v_sub_u32_e32 v17, v17, v25
	v_add_u32_e32 v25, 1, v24
	v_cmp_le_u32_e32 vcc, s12, v17
	v_xor_b32_e32 v23, s20, v23
	s_nop 0
	v_cndmask_b32_e32 v24, v24, v25, vcc
	v_subrev_u32_e32 v25, s12, v17
	v_cndmask_b32_e32 v17, v17, v25, vcc
	v_add_u32_e32 v25, 1, v24
	v_cmp_le_u32_e32 vcc, s12, v17
	s_nop 1
	v_cndmask_b32_e32 v17, v24, v25, vcc
	v_xor_b32_e32 v17, v17, v23
	v_sub_u32_e32 v24, 0, v15
	v_sub_u32_e32 v17, v17, v23
	v_ashrrev_i32_e32 v23, 31, v15
	v_max_i32_e32 v15, v24, v15
	v_mul_hi_u32 v24, v15, v22
	v_mul_lo_u32 v25, v24, s12
	v_sub_u32_e32 v15, v15, v25
	v_add_u32_e32 v25, 1, v24
	v_cmp_le_u32_e32 vcc, s12, v15
	v_xor_b32_e32 v23, s20, v23
	s_nop 0
	v_cndmask_b32_e32 v24, v24, v25, vcc
	v_subrev_u32_e32 v25, s12, v15
	v_cndmask_b32_e32 v15, v15, v25, vcc
	v_add_u32_e32 v25, 1, v24
	v_cmp_le_u32_e32 vcc, s12, v15
	s_nop 1
	v_cndmask_b32_e32 v15, v24, v25, vcc
	v_xor_b32_e32 v15, v15, v23
	v_sub_u32_e32 v24, 0, v13
	v_sub_u32_e32 v15, v15, v23
	v_ashrrev_i32_e32 v23, 31, v13
	v_max_i32_e32 v13, v24, v13
	v_mul_hi_u32 v24, v13, v22
	v_mul_lo_u32 v25, v24, s12
	v_sub_u32_e32 v13, v13, v25
	v_add_u32_e32 v25, 1, v24
	v_cmp_le_u32_e32 vcc, s12, v13
	v_xor_b32_e32 v23, s20, v23
	s_nop 0
	v_cndmask_b32_e32 v24, v24, v25, vcc
	v_subrev_u32_e32 v25, s12, v13
	v_cndmask_b32_e32 v13, v13, v25, vcc
	v_add_u32_e32 v25, 1, v24
	v_cmp_le_u32_e32 vcc, s12, v13
	s_nop 1
	v_cndmask_b32_e32 v13, v24, v25, vcc
	v_xor_b32_e32 v13, v13, v23
	v_sub_u32_e32 v24, 0, v11
	v_sub_u32_e32 v13, v13, v23
	v_ashrrev_i32_e32 v23, 31, v11
	v_max_i32_e32 v11, v24, v11
	v_mul_hi_u32 v24, v11, v22
	v_mul_lo_u32 v25, v24, s12
	v_sub_u32_e32 v11, v11, v25
	v_add_u32_e32 v25, 1, v24
	v_cmp_le_u32_e32 vcc, s12, v11
	v_xor_b32_e32 v23, s20, v23
	.loc	1 62 30                         ; fp8_utils_aot.py:62:30
	v_mul_lo_u32 v26, v13, s24
	.loc	1 61 26                         ; fp8_utils_aot.py:61:26
	v_cndmask_b32_e32 v24, v24, v25, vcc
	v_subrev_u32_e32 v25, s12, v11
	v_cndmask_b32_e32 v11, v11, v25, vcc
	v_add_u32_e32 v25, 1, v24
	v_cmp_le_u32_e32 vcc, s12, v11
	.loc	1 62 19                         ; fp8_utils_aot.py:62:19
	v_ashrrev_i32_e32 v13, 31, v12
	v_ashrrev_i32_e32 v27, 31, v26
	.loc	1 61 26                         ; fp8_utils_aot.py:61:26
	v_cndmask_b32_e32 v11, v24, v25, vcc
	v_xor_b32_e32 v11, v11, v23
	v_sub_u32_e32 v24, 0, v9
	v_sub_u32_e32 v11, v11, v23
	v_ashrrev_i32_e32 v23, 31, v9
	v_max_i32_e32 v9, v24, v9
	v_mul_hi_u32 v24, v9, v22
	v_mul_lo_u32 v25, v24, s12
	v_sub_u32_e32 v9, v9, v25
	v_add_u32_e32 v25, 1, v24
	v_cmp_le_u32_e32 vcc, s12, v9
	v_xor_b32_e32 v23, s20, v23
	.loc	1 62 30                         ; fp8_utils_aot.py:62:30
	v_mul_lo_u32 v28, v11, s24
	.loc	1 61 26                         ; fp8_utils_aot.py:61:26
	v_cndmask_b32_e32 v24, v24, v25, vcc
	v_subrev_u32_e32 v25, s12, v9
	v_cndmask_b32_e32 v9, v9, v25, vcc
	v_add_u32_e32 v25, 1, v24
	v_cmp_le_u32_e32 vcc, s12, v9
	.loc	1 62 19                         ; fp8_utils_aot.py:62:19
	v_ashrrev_i32_e32 v11, 31, v10
	v_ashrrev_i32_e32 v29, 31, v28
	.loc	1 61 26                         ; fp8_utils_aot.py:61:26
	;; [unrolled: 24-line block ×4, first 2 shown]
	v_cndmask_b32_e32 v20, v24, v25, vcc
	v_xor_b32_e32 v20, v20, v23
	v_sub_u32_e32 v24, 0, v21
	v_sub_u32_e32 v23, v20, v23
	v_ashrrev_i32_e32 v20, 31, v21
	v_max_i32_e32 v21, v24, v21
	v_mul_hi_u32 v22, v21, v22
	v_mul_lo_u32 v24, v22, s12
	v_sub_u32_e32 v21, v21, v24
	v_add_u32_e32 v24, 1, v22
	v_cmp_le_u32_e32 vcc, s12, v21
	v_xor_b32_e32 v20, s20, v20
	.loc	1 62 30                         ; fp8_utils_aot.py:62:30
	v_mul_lo_u32 v36, v23, s24
	.loc	1 61 26                         ; fp8_utils_aot.py:61:26
	v_cndmask_b32_e32 v22, v22, v24, vcc
	v_subrev_u32_e32 v24, s12, v21
	v_cndmask_b32_e32 v21, v21, v24, vcc
	v_add_u32_e32 v24, 1, v22
	v_cmp_le_u32_e32 vcc, s12, v21
	.loc	1 62 19                         ; fp8_utils_aot.py:62:19
	v_ashrrev_i32_e32 v37, 31, v36
	.loc	1 61 26                         ; fp8_utils_aot.py:61:26
	s_nop 0
	v_cndmask_b32_e32 v21, v22, v24, vcc
	v_xor_b32_e32 v21, v21, v20
	v_sub_u32_e32 v21, v21, v20
	.loc	1 62 30                         ; fp8_utils_aot.py:62:30
	v_mul_lo_u32 v20, v19, s24
	v_mul_lo_u32 v22, v17, s24
	;; [unrolled: 1-line block ×4, first 2 shown]
	.loc	1 62 19 is_stmt 0               ; fp8_utils_aot.py:62:19
	v_ashrrev_i32_e32 v15, 31, v14
	v_ashrrev_i32_e32 v17, 31, v16
	;; [unrolled: 1-line block ×7, first 2 shown]
	.loc	1 65 22 is_stmt 1               ; fp8_utils_aot.py:65:22
	s_cbranch_scc1 .LBB0_258
; %bb.257:                              ; %.._crit_edge_crit_edge
	.loc	1 66 20                         ; fp8_utils_aot.py:66:20
	v_and_b32_e32 v45, 0x70, v40
	v_bitop3_b32 v93, v43, v44, v45 bitop3:0x36
	.loc	1 67 20                         ; fp8_utils_aot.py:67:20
	v_and_b32_e32 v45, 48, v42
	s_movk_i32 s12, 0xb80
	v_and_or_b32 v45, v41, s12, v45
	v_readlane_b32 s12, v255, 29
	v_and_b32_e32 v46, 8, v40
	.loc	1 70 29                         ; fp8_utils_aot.py:70:29
	s_abs_i32 s40, s80
	.loc	1 67 20                         ; fp8_utils_aot.py:67:20
	v_bitop3_b32 v45, s12, v45, v1 bitop3:0x36
	s_movk_i32 s12, 0x440
	v_or_b32_e32 v102, v45, v46
	v_bitop3_b32 v46, v45, s12, v46 bitop3:0x36
	.loc	1 70 29                         ; fp8_utils_aot.py:70:29
	v_cvt_f32_u32_e32 v45, s40
	s_sub_i32 s12, 0, s40
	.loc	1 66 20                         ; fp8_utils_aot.py:66:20
	v_xor_b32_e32 v94, 32, v93
	v_xor_b32_e32 v96, 64, v93
	.loc	1 70 29                         ; fp8_utils_aot.py:70:29
	v_rcp_iflag_f32_e32 v45, v45
	.loc	1 66 20                         ; fp8_utils_aot.py:66:20
	v_xor_b32_e32 v97, 0x60, v93
	.loc	1 70 29                         ; fp8_utils_aot.py:70:29
	s_ashr_i32 s97, s80, 31
	s_mov_b32 s25, 0
	v_mul_f32_e32 v45, 0x4f7ffffe, v45
	v_cvt_u32_f32_e32 v45, v45
	s_mov_b64 s[26:27], 0
	v_readfirstlane_b32 s18, v45
	s_mul_i32 s12, s12, s18
	s_mul_hi_u32 s12, s18, s12
	s_add_i32 s24, s18, s12
	s_branch .LBB0_259
.LBB0_258:
	.loc	1 0 29 is_stmt 0                ; fp8_utils_aot.py:0:29
	s_mov_b64 s[26:27], -1
                                        ; implicit-def: $vgpr93
                                        ; implicit-def: $vgpr94
                                        ; implicit-def: $vgpr96
                                        ; implicit-def: $vgpr97
                                        ; implicit-def: $vgpr102
                                        ; implicit-def: $vgpr46
                                        ; implicit-def: $sgpr24_sgpr25
.LBB0_259:                              ; %Flow1029
	s_load_dwordx2 s[20:21], s[0:1], 0x58
	v_lshl_add_u64 v[226:227], v[2:3], 2, s[8:9]
	v_lshl_add_u64 v[224:225], v[4:5], 2, s[8:9]
	;; [unrolled: 1-line block ×18, first 2 shown]
	s_andn2_b64 vcc, exec, s[26:27]
	v_mov_b32_e32 v161, 0
	v_mov_b32_e32 v160, 0
	;; [unrolled: 1-line block ×32, first 2 shown]
	s_cbranch_vccnz .LBB0_456
; %bb.260:                              ; %.lr.ph
	s_abs_i32 s40, s80
	v_cvt_f32_u32_e32 v4, s40
	v_and_b32_e32 v2, 0x70, v40
	v_bitop3_b32 v93, v43, v44, v2 bitop3:0x36
	v_and_b32_e32 v2, 48, v42
	s_movk_i32 s9, 0xb80
	v_and_or_b32 v2, v41, s9, v2
	v_readlane_b32 s9, v255, 29
.Ltmp12:
	.loc	2 43 30 is_stmt 1               ; standard.py:43:30 @[ fp8_utils_aot.py:65:33 ]
	s_ashr_i32 s8, s87, 31
	v_and_b32_e32 v3, 8, v40
	v_bitop3_b32 v1, s9, v2, v1 bitop3:0x36
	v_rcp_iflag_f32_e32 v2, v4
	s_movk_i32 s9, 0x440
	s_lshr_b32 s8, s8, 25
	v_bitop3_b32 v4, v1, s9, v3 bitop3:0x36
	v_mul_f32_e32 v2, 0x4f7ffffe, v2
	v_cvt_u32_f32_e32 v2, v2
	s_sub_i32 s9, 0, s40
	s_add_i32 s87, s87, s8
	s_ashr_i32 s8, s87, 7
	v_readfirstlane_b32 s12, v2
	s_mul_i32 s9, s9, s12
.Ltmp13:
	.loc	1 76 33                         ; fp8_utils_aot.py:76:33
	s_lshl_b32 s10, s22, 7
	.loc	1 75 33                         ; fp8_utils_aot.py:75:33
	s_lshl_b32 s11, s19, 7
	s_mul_hi_u32 s9, s12, s9
	s_ashr_i32 s22, s11, 31
	s_ashr_i32 s26, s10, 31
	.loc	1 65 22                         ; fp8_utils_aot.py:65:22
	s_max_i32 s8, s8, 2
	s_ashr_i32 s97, s80, 31
	s_add_i32 s24, s12, s9
	s_add_u32 s4, s4, s10
	v_readlane_b32 s9, v255, 2
	s_addc_u32 s5, s5, s26
	s_and_b32 s9, s9, 64
	v_bitop3_b16 v0, s9, v0, 63 bitop3:0xf8
	v_and_b32_e32 v0, 0xffff, v0
	v_accvgpr_write_b32 a136, v228
	v_mul_lo_u32 v0, s19, v0
	v_readlane_b32 s9, v255, 28
	v_accvgpr_write_b32 a138, v230
	v_accvgpr_write_b32 a137, v229
	v_add_u32_e32 v228, s9, v0
	v_readlane_b32 s9, v255, 8
	v_accvgpr_write_b32 a140, v232
	v_accvgpr_write_b32 a139, v231
	v_add_u32_e32 v230, s9, v0
	;; [unrolled: 4-line block ×11, first 2 shown]
	v_readlane_b32 s9, v255, 26
	v_add_u32_e32 v58, s6, v0
	v_readlane_b32 s6, v255, 16
	v_add_u32_e32 v252, s9, v0
	;; [unrolled: 2-line block ×10, first 2 shown]
	v_readlane_b32 s9, v255, 21
	v_accvgpr_write_b32 a152, v244
	s_add_u32 s2, s2, s11
	v_add_u32_e32 v44, s9, v0
	v_readlane_b32 s9, v255, 20
	v_add_u32_e32 v68, s6, v0
	v_readlane_b32 s6, v255, 11
	;; [unrolled: 2-line block ×3, first 2 shown]
	v_accvgpr_write_b32 a153, v245
	v_accvgpr_write_b32 a135, v111
	v_add_u32_e32 v50, s9, v0
	v_readlane_b32 s9, v255, 18
	v_accvgpr_write_b32 a133, v109
	v_accvgpr_write_b32 a131, v107
	v_add_u32_e32 v54, s9, v0
	v_readlane_b32 s9, v255, 17
	v_accvgpr_write_b32 a129, v105
	v_or_b32_e32 v102, v1, v3
	v_bitop3_b32 v1, v1, 64, v3 bitop3:0x36
	s_mov_b32 s25, 0
	s_addc_u32 s3, s3, s22
	v_add_u32_e32 v244, s72, v0
	v_add_u32_e32 v36, s89, v0
	;; [unrolled: 1-line block ×6, first 2 shown]
	s_lshl_b32 s6, s8, 7
	v_mov_b32_e32 v188, 0
	v_accvgpr_write_b32 a151, v243
	v_accvgpr_write_b32 a134, v110
	;; [unrolled: 1-line block ×5, first 2 shown]
	v_xor_b32_e32 v94, 32, v93
	v_xor_b32_e32 v96, 64, v93
	;; [unrolled: 1-line block ×3, first 2 shown]
	v_accvgpr_write_b32 a185, v4
	v_ashrrev_i32_e32 v229, 31, v228
	v_ashrrev_i32_e32 v231, 31, v230
	;; [unrolled: 1-line block ×32, first 2 shown]
	s_add_i32 s15, s6, 0xffffff80
	s_add_i32 s6, s14, 0xffffff80
	v_add_u32_e32 v103, 0, v1
	s_mov_b32 s12, s25
	v_mov_b32_e32 v189, v188
	v_mov_b32_e32 v190, v188
	;; [unrolled: 1-line block ×31, first 2 shown]
	s_branch .LBB0_263
.LBB0_261:                              ;   in Loop: Header=BB0_263 Depth=1
	.loc	1 65 22                         ; fp8_utils_aot.py:65:22
	v_lshl_add_u64 v[0:1], s[4:5], 0, v[158:159]
	.loc	1 67 20                         ; fp8_utils_aot.py:67:20
	global_load_ubyte a111, v[0:1], off
.LBB0_262:                              ;   in Loop: Header=BB0_263 Depth=1
	.loc	1 70 29                         ; fp8_utils_aot.py:70:29
	s_abs_i32 s9, s12
	s_mul_hi_u32 s14, s9, s24
	s_mul_i32 s18, s14, s40
	s_ashr_i32 s8, s12, 31
	s_sub_i32 s9, s9, s18
	s_xor_b32 s8, s8, s97
	s_add_i32 s18, s14, 1
	s_sub_i32 s19, s9, s40
	s_cmp_ge_u32 s9, s40
	s_cselect_b32 s14, s18, s14
	s_cselect_b32 s9, s19, s9
	s_add_i32 s18, s14, 1
	s_cmp_ge_u32 s9, s40
	s_cselect_b32 s9, s18, s14
	s_xor_b32 s9, s9, s8
	s_sub_i32 s14, s9, s8
	.loc	1 71 42                         ; fp8_utils_aot.py:71:42
	s_mul_i32 s8, s14, s20
	.loc	1 71 32 is_stmt 0               ; fp8_utils_aot.py:71:32
	s_ashr_i32 s9, s8, 31
	.loc	1 67 20 is_stmt 1               ; fp8_utils_aot.py:67:20
	v_add_u32_e32 v0, 0, v102
	.loc	1 71 32                         ; fp8_utils_aot.py:71:32
	s_lshl_b64 s[8:9], s[8:9], 2
	.loc	1 67 20                         ; fp8_utils_aot.py:67:20
	ds_read_b64_tr_b8 a[112:113], v0
	ds_read_b64_tr_b8 a[116:117], v0 offset:4096
	ds_read_b64_tr_b8 a[120:121], v0 offset:8192
	;; [unrolled: 1-line block ×7, first 2 shown]
	.loc	1 71 32                         ; fp8_utils_aot.py:71:32
	v_lshl_add_u64 v[0:1], v[226:227], 0, s[8:9]
	v_lshl_add_u64 v[2:3], v[224:225], 0, s[8:9]
	.loc	1 72 42                         ; fp8_utils_aot.py:72:42
	s_mul_i32 s8, s14, s21
	.loc	1 72 32 is_stmt 0               ; fp8_utils_aot.py:72:32
	s_ashr_i32 s9, s8, 31
	s_lshl_b64 s[8:9], s[8:9], 2
	.loc	1 71 22 is_stmt 1               ; fp8_utils_aot.py:71:22
	global_load_dword v90, v[0:1], off
	global_load_dword v72, v[2:3], off
	.loc	1 72 32                         ; fp8_utils_aot.py:72:32
	v_lshl_add_u64 v[0:1], v[222:223], 0, s[8:9]
	v_lshl_add_u64 v[82:83], v[206:207], 0, s[8:9]
	;; [unrolled: 1-line block ×16, first 2 shown]
	.loc	1 72 22 is_stmt 0               ; fp8_utils_aot.py:72:22
	global_load_dword v74, v[0:1], off
	global_load_dword v75, v[2:3], off
	;; [unrolled: 1-line block ×8, first 2 shown]
	s_nop 0
	global_load_dword v82, v[82:83], off
	s_nop 0
	global_load_dword v83, v[84:85], off
	;; [unrolled: 2-line block ×3, first 2 shown]
	global_load_dword v85, v[88:89], off
	s_nop 0
	global_load_dword v86, v[104:105], off
	global_load_dword v87, v[106:107], off
	;; [unrolled: 1-line block ×4, first 2 shown]
	.loc	1 74 33 is_stmt 1               ; fp8_utils_aot.py:74:33
	s_waitcnt lgkmcnt(2)
	v_mfma_f32_32x32x64_f8f6f4 v[0:15], a[112:119], v[24:31], 0
	.loc	1 65 22                         ; fp8_utils_aot.py:65:22
	s_addk_i32 s12, 0x80
	s_add_u32 s4, s4, s10
	s_addc_u32 s5, s5, s26
	s_add_u32 s2, s2, s11
	s_addc_u32 s3, s3, s22
	s_addk_i32 s6, 0xff80
	s_cmp_lg_u32 s15, s12
	.loc	1 66 20                         ; fp8_utils_aot.py:66:20
	s_waitcnt lgkmcnt(0)
	s_barrier
	s_waitcnt vmcnt(18)
	ds_write_b8 v91, a16 offset:16384
	ds_write_b8 v91, a24 offset:18432
	;; [unrolled: 1-line block ×32, first 2 shown]
	.loc	1 67 20                         ; fp8_utils_aot.py:67:20
	ds_write_b8 v91, a48
	ds_write_b8 v91, a56 offset:2048
	ds_write_b8 v91, a64 offset:4096
	;; [unrolled: 1-line block ×63, first 2 shown]
	.loc	1 74 33                         ; fp8_utils_aot.py:74:33
	v_mfma_f32_32x32x64_f8f6f4 v[0:15], a[120:127], v[16:23], v[0:15]
	v_mfma_f32_32x32x64_f8f6f4 v[16:31], a[112:119], a[8:15], 0
	.loc	1 74 38 is_stmt 0               ; fp8_utils_aot.py:74:38
	s_waitcnt vmcnt(17)
	s_nop 15
	s_nop 1
	v_mul_f32_e64 v0, v90, v0
	v_mul_f32_e64 v1, v90, v1
	.loc	1 74 33                         ; fp8_utils_aot.py:74:33
	v_mfma_f32_32x32x64_f8f6f4 v[16:31], a[120:127], a[0:7], v[16:31]
	.loc	1 74 38                         ; fp8_utils_aot.py:74:38
	v_mul_f32_e64 v2, v90, v2
	v_mul_f32_e64 v3, v90, v3
	;; [unrolled: 1-line block ×14, first 2 shown]
	.loc	1 74 23                         ; fp8_utils_aot.py:74:23
	s_waitcnt vmcnt(14)
	v_pk_fma_f32 v[188:189], v[74:75], v[0:1], v[188:189]
	s_waitcnt vmcnt(12)
	v_pk_fma_f32 v[190:191], v[76:77], v[2:3], v[190:191]
	;; [unrolled: 2-line block ×8, first 2 shown]
	.loc	1 74 38                         ; fp8_utils_aot.py:74:38
	v_pk_mul_f32 v[16:17], v[72:73], v[16:17] op_sel_hi:[0,1]
	v_pk_mul_f32 v[18:19], v[72:73], v[18:19] op_sel_hi:[0,1]
	;; [unrolled: 1-line block ×8, first 2 shown]
	.loc	1 74 23                         ; fp8_utils_aot.py:74:23
	v_pk_fma_f32 v[174:175], v[74:75], v[16:17], v[174:175]
	v_pk_fma_f32 v[172:173], v[76:77], v[18:19], v[172:173]
	;; [unrolled: 1-line block ×8, first 2 shown]
	.loc	1 65 22 is_stmt 1               ; fp8_utils_aot.py:65:22
	s_cbranch_scc0 .LBB0_455
.LBB0_263:                              ; =>This Inner Loop Header: Depth=1
	.loc	1 66 51                         ; fp8_utils_aot.py:66:51
	v_cmp_gt_i32_e32 vcc, s6, v73
	v_accvgpr_write_b32 a16, 0
	.loc	1 66 20 is_stmt 0               ; fp8_utils_aot.py:66:20
	s_and_saveexec_b64 s[8:9], vcc
	s_cbranch_execz .LBB0_265
; %bb.264:                              ;   in Loop: Header=BB0_263 Depth=1
	.loc	1 75 18 is_stmt 1               ; fp8_utils_aot.py:75:18
	v_lshl_add_u64 v[0:1], s[2:3], 0, v[70:71]
	.loc	1 66 20                         ; fp8_utils_aot.py:66:20
	global_load_ubyte a16, v[0:1], off
.LBB0_265:                              ;   in Loop: Header=BB0_263 Depth=1
	.loc	1 0 20 is_stmt 0                ; fp8_utils_aot.py:0:20
	s_or_b64 exec, exec, s[8:9]
	v_accvgpr_write_b32 a17, 0
	v_accvgpr_write_b32 a18, 0
	.loc	1 66 20                         ; fp8_utils_aot.py:66:20
	s_and_saveexec_b64 s[8:9], vcc
	s_cbranch_execz .LBB0_267
; %bb.266:                              ;   in Loop: Header=BB0_263 Depth=1
	.loc	1 75 18 is_stmt 1               ; fp8_utils_aot.py:75:18
	v_lshl_add_u64 v[0:1], s[2:3], 0, v[68:69]
	.loc	1 66 20                         ; fp8_utils_aot.py:66:20
	global_load_ubyte a18, v[0:1], off
.LBB0_267:                              ;   in Loop: Header=BB0_263 Depth=1
	.loc	1 0 20 is_stmt 0                ; fp8_utils_aot.py:0:20
	s_or_b64 exec, exec, s[8:9]
	.loc	1 66 20                         ; fp8_utils_aot.py:66:20
	s_and_saveexec_b64 s[8:9], vcc
	s_cbranch_execz .LBB0_269
; %bb.268:                              ;   in Loop: Header=BB0_263 Depth=1
	.loc	1 75 18 is_stmt 1               ; fp8_utils_aot.py:75:18
	v_lshl_add_u64 v[0:1], s[2:3], 0, v[66:67]
	.loc	1 66 20                         ; fp8_utils_aot.py:66:20
	global_load_ubyte a17, v[0:1], off
.LBB0_269:                              ;   in Loop: Header=BB0_263 Depth=1
	.loc	1 0 20 is_stmt 0                ; fp8_utils_aot.py:0:20
	s_or_b64 exec, exec, s[8:9]
	v_accvgpr_write_b32 a19, 0
	v_accvgpr_write_b32 a20, 0
	.loc	1 66 20                         ; fp8_utils_aot.py:66:20
	s_and_saveexec_b64 s[8:9], vcc
	s_cbranch_execz .LBB0_271
; %bb.270:                              ;   in Loop: Header=BB0_263 Depth=1
	.loc	1 75 18 is_stmt 1               ; fp8_utils_aot.py:75:18
	v_lshl_add_u64 v[0:1], s[2:3], 0, v[64:65]
	.loc	1 66 20                         ; fp8_utils_aot.py:66:20
	global_load_ubyte a20, v[0:1], off
.LBB0_271:                              ;   in Loop: Header=BB0_263 Depth=1
	.loc	1 0 20 is_stmt 0                ; fp8_utils_aot.py:0:20
	s_or_b64 exec, exec, s[8:9]
	.loc	1 66 20                         ; fp8_utils_aot.py:66:20
	;; [unrolled: 24-line block ×14, first 2 shown]
	s_and_saveexec_b64 s[8:9], vcc
	s_cbranch_execz .LBB0_321
; %bb.320:                              ;   in Loop: Header=BB0_263 Depth=1
	.loc	1 75 18 is_stmt 1               ; fp8_utils_aot.py:75:18
	v_lshl_add_u64 v[0:1], s[2:3], 0, v[234:235]
	.loc	1 66 20                         ; fp8_utils_aot.py:66:20
	global_load_ubyte a43, v[0:1], off
.LBB0_321:                              ;   in Loop: Header=BB0_263 Depth=1
	.loc	1 0 20 is_stmt 0                ; fp8_utils_aot.py:0:20
	s_or_b64 exec, exec, s[8:9]
	v_accvgpr_write_b32 a45, 0
	v_accvgpr_write_b32 a46, 0
	.loc	1 66 20                         ; fp8_utils_aot.py:66:20
	s_and_saveexec_b64 s[8:9], vcc
	s_cbranch_execnz .LBB0_389
; %bb.322:                              ;   in Loop: Header=BB0_263 Depth=1
	.loc	1 0 20                          ; fp8_utils_aot.py:0:20
	s_or_b64 exec, exec, s[8:9]
	.loc	1 66 20                         ; fp8_utils_aot.py:66:20
	s_and_saveexec_b64 s[8:9], vcc
	s_cbranch_execnz .LBB0_390
.LBB0_323:                              ;   in Loop: Header=BB0_263 Depth=1
	.loc	1 0 20                          ; fp8_utils_aot.py:0:20
	s_or_b64 exec, exec, s[8:9]
	v_accvgpr_write_b32 a47, 0
	.loc	1 66 20                         ; fp8_utils_aot.py:66:20
	s_and_saveexec_b64 s[8:9], vcc
	s_cbranch_execz .LBB0_325
.LBB0_324:                              ;   in Loop: Header=BB0_263 Depth=1
	.loc	1 76 18 is_stmt 1               ; fp8_utils_aot.py:76:18
	v_lshl_add_u64 v[0:1], s[2:3], 0, v[228:229]
	.loc	1 66 20                         ; fp8_utils_aot.py:66:20
	global_load_ubyte a47, v[0:1], off
.LBB0_325:                              ;   in Loop: Header=BB0_263 Depth=1
	.loc	1 0 20 is_stmt 0                ; fp8_utils_aot.py:0:20
	s_or_b64 exec, exec, s[8:9]
	.loc	1 66 20                         ; fp8_utils_aot.py:66:20
	v_add_u32_e32 v0, 0, v93
	s_waitcnt lgkmcnt(0)
	s_barrier
	ds_read_b128 v[24:27], v0 offset:16384
	ds_read_b128 a[8:11], v0 offset:20480
	v_add_u32_e32 v0, 0, v94
	ds_read_b128 v[28:31], v0 offset:16384
	ds_read_b128 a[12:15], v0 offset:20480
	v_add_u32_e32 v0, 0, v96
	;; [unrolled: 3-line block ×3, first 2 shown]
	ds_read_b128 v[20:23], v0 offset:16384
	.loc	1 67 51 is_stmt 1               ; fp8_utils_aot.py:67:51
	ds_read_b128 a[4:7], v0 offset:20480
	s_cmp_ge_i32 s28, s6
	.loc	1 67 20 is_stmt 0               ; fp8_utils_aot.py:67:20
	s_cbranch_scc1 .LBB0_391
; %bb.326:                              ;   in Loop: Header=BB0_263 Depth=1
	.loc	1 76 18 is_stmt 1               ; fp8_utils_aot.py:76:18
	v_lshl_add_u64 v[0:1], s[4:5], 0, v[32:33]
	.loc	1 67 20                         ; fp8_utils_aot.py:67:20
	global_load_ubyte a48, v[0:1], off
	.loc	1 67 51 is_stmt 0               ; fp8_utils_aot.py:67:51
	s_cmp_ge_i32 s29, s6
	.loc	1 67 20                         ; fp8_utils_aot.py:67:20
	s_cbranch_scc0 .LBB0_392
.LBB0_327:                              ;   in Loop: Header=BB0_263 Depth=1
	.loc	1 0 20                          ; fp8_utils_aot.py:0:20
	v_accvgpr_write_b32 a49, 0
	.loc	1 67 51                         ; fp8_utils_aot.py:67:51
	s_cmp_ge_i32 s30, s6
	.loc	1 67 20                         ; fp8_utils_aot.py:67:20
	s_cbranch_scc0 .LBB0_393
.LBB0_328:                              ;   in Loop: Header=BB0_263 Depth=1
	.loc	1 0 20                          ; fp8_utils_aot.py:0:20
	v_accvgpr_write_b32 a50, 0
	.loc	1 67 51                         ; fp8_utils_aot.py:67:51
	s_cmp_ge_i32 s31, s6
	.loc	1 67 20                         ; fp8_utils_aot.py:67:20
	s_cbranch_scc0 .LBB0_394
.LBB0_329:                              ;   in Loop: Header=BB0_263 Depth=1
	.loc	1 0 20                          ; fp8_utils_aot.py:0:20
	v_accvgpr_write_b32 a51, 0
	.loc	1 67 51                         ; fp8_utils_aot.py:67:51
	s_cmp_ge_i32 s33, s6
	.loc	1 67 20                         ; fp8_utils_aot.py:67:20
	s_cbranch_scc0 .LBB0_395
.LBB0_330:                              ;   in Loop: Header=BB0_263 Depth=1
	.loc	1 0 20                          ; fp8_utils_aot.py:0:20
	v_accvgpr_write_b32 a52, 0
	.loc	1 67 51                         ; fp8_utils_aot.py:67:51
	s_cmp_ge_i32 s34, s6
	.loc	1 67 20                         ; fp8_utils_aot.py:67:20
	s_cbranch_scc0 .LBB0_396
.LBB0_331:                              ;   in Loop: Header=BB0_263 Depth=1
	.loc	1 0 20                          ; fp8_utils_aot.py:0:20
	v_accvgpr_write_b32 a53, 0
	.loc	1 67 51                         ; fp8_utils_aot.py:67:51
	s_cmp_ge_i32 s35, s6
	.loc	1 67 20                         ; fp8_utils_aot.py:67:20
	s_cbranch_scc0 .LBB0_397
.LBB0_332:                              ;   in Loop: Header=BB0_263 Depth=1
	.loc	1 0 20                          ; fp8_utils_aot.py:0:20
	v_accvgpr_write_b32 a54, 0
	.loc	1 67 51                         ; fp8_utils_aot.py:67:51
	s_cmp_ge_i32 s36, s6
	.loc	1 67 20                         ; fp8_utils_aot.py:67:20
	s_cbranch_scc0 .LBB0_398
.LBB0_333:                              ;   in Loop: Header=BB0_263 Depth=1
	.loc	1 0 20                          ; fp8_utils_aot.py:0:20
	v_accvgpr_write_b32 a55, 0
	.loc	1 67 51                         ; fp8_utils_aot.py:67:51
	s_cmp_ge_i32 s37, s6
	.loc	1 67 20                         ; fp8_utils_aot.py:67:20
	s_cbranch_scc0 .LBB0_399
.LBB0_334:                              ;   in Loop: Header=BB0_263 Depth=1
	.loc	1 0 20                          ; fp8_utils_aot.py:0:20
	v_accvgpr_write_b32 a56, 0
	.loc	1 67 51                         ; fp8_utils_aot.py:67:51
	s_cmp_ge_i32 s38, s6
	.loc	1 67 20                         ; fp8_utils_aot.py:67:20
	s_cbranch_scc0 .LBB0_400
.LBB0_335:                              ;   in Loop: Header=BB0_263 Depth=1
	.loc	1 0 20                          ; fp8_utils_aot.py:0:20
	v_accvgpr_write_b32 a57, 0
	.loc	1 67 51                         ; fp8_utils_aot.py:67:51
	s_cmp_ge_i32 s39, s6
	.loc	1 67 20                         ; fp8_utils_aot.py:67:20
	s_cbranch_scc0 .LBB0_401
.LBB0_336:                              ;   in Loop: Header=BB0_263 Depth=1
	.loc	1 0 20                          ; fp8_utils_aot.py:0:20
	v_accvgpr_write_b32 a58, 0
	.loc	1 67 51                         ; fp8_utils_aot.py:67:51
	s_cmp_ge_i32 s41, s6
	.loc	1 67 20                         ; fp8_utils_aot.py:67:20
	s_cbranch_scc0 .LBB0_402
.LBB0_337:                              ;   in Loop: Header=BB0_263 Depth=1
	.loc	1 0 20                          ; fp8_utils_aot.py:0:20
	v_accvgpr_write_b32 a59, 0
	.loc	1 67 51                         ; fp8_utils_aot.py:67:51
	s_cmp_ge_i32 s42, s6
	.loc	1 67 20                         ; fp8_utils_aot.py:67:20
	s_cbranch_scc0 .LBB0_403
.LBB0_338:                              ;   in Loop: Header=BB0_263 Depth=1
	.loc	1 0 20                          ; fp8_utils_aot.py:0:20
	v_accvgpr_write_b32 a60, 0
	.loc	1 67 51                         ; fp8_utils_aot.py:67:51
	s_cmp_ge_i32 s43, s6
	.loc	1 67 20                         ; fp8_utils_aot.py:67:20
	s_cbranch_scc0 .LBB0_404
.LBB0_339:                              ;   in Loop: Header=BB0_263 Depth=1
	.loc	1 0 20                          ; fp8_utils_aot.py:0:20
	v_accvgpr_write_b32 a61, 0
	.loc	1 67 51                         ; fp8_utils_aot.py:67:51
	s_cmp_ge_i32 s44, s6
	.loc	1 67 20                         ; fp8_utils_aot.py:67:20
	s_cbranch_scc0 .LBB0_405
.LBB0_340:                              ;   in Loop: Header=BB0_263 Depth=1
	.loc	1 0 20                          ; fp8_utils_aot.py:0:20
	v_accvgpr_write_b32 a62, 0
	.loc	1 67 51                         ; fp8_utils_aot.py:67:51
	s_cmp_ge_i32 s45, s6
	.loc	1 67 20                         ; fp8_utils_aot.py:67:20
	s_cbranch_scc0 .LBB0_406
.LBB0_341:                              ;   in Loop: Header=BB0_263 Depth=1
	.loc	1 0 20                          ; fp8_utils_aot.py:0:20
	v_accvgpr_write_b32 a63, 0
	.loc	1 67 51                         ; fp8_utils_aot.py:67:51
	s_cmp_ge_i32 s46, s6
	.loc	1 67 20                         ; fp8_utils_aot.py:67:20
	s_cbranch_scc0 .LBB0_407
.LBB0_342:                              ;   in Loop: Header=BB0_263 Depth=1
	.loc	1 0 20                          ; fp8_utils_aot.py:0:20
	v_accvgpr_write_b32 a64, 0
	.loc	1 67 51                         ; fp8_utils_aot.py:67:51
	s_cmp_ge_i32 s47, s6
	.loc	1 67 20                         ; fp8_utils_aot.py:67:20
	s_cbranch_scc0 .LBB0_408
.LBB0_343:                              ;   in Loop: Header=BB0_263 Depth=1
	.loc	1 0 20                          ; fp8_utils_aot.py:0:20
	v_accvgpr_write_b32 a65, 0
	.loc	1 67 51                         ; fp8_utils_aot.py:67:51
	s_cmp_ge_i32 s48, s6
	.loc	1 67 20                         ; fp8_utils_aot.py:67:20
	s_cbranch_scc0 .LBB0_409
.LBB0_344:                              ;   in Loop: Header=BB0_263 Depth=1
	.loc	1 0 20                          ; fp8_utils_aot.py:0:20
	v_accvgpr_write_b32 a66, 0
	.loc	1 67 51                         ; fp8_utils_aot.py:67:51
	s_cmp_ge_i32 s49, s6
	.loc	1 67 20                         ; fp8_utils_aot.py:67:20
	s_cbranch_scc0 .LBB0_410
.LBB0_345:                              ;   in Loop: Header=BB0_263 Depth=1
	.loc	1 0 20                          ; fp8_utils_aot.py:0:20
	v_accvgpr_write_b32 a67, 0
	.loc	1 67 51                         ; fp8_utils_aot.py:67:51
	s_cmp_ge_i32 s50, s6
	.loc	1 67 20                         ; fp8_utils_aot.py:67:20
	s_cbranch_scc0 .LBB0_411
.LBB0_346:                              ;   in Loop: Header=BB0_263 Depth=1
	.loc	1 0 20                          ; fp8_utils_aot.py:0:20
	v_accvgpr_write_b32 a68, 0
	.loc	1 67 51                         ; fp8_utils_aot.py:67:51
	s_cmp_ge_i32 s51, s6
	.loc	1 67 20                         ; fp8_utils_aot.py:67:20
	s_cbranch_scc0 .LBB0_412
.LBB0_347:                              ;   in Loop: Header=BB0_263 Depth=1
	.loc	1 0 20                          ; fp8_utils_aot.py:0:20
	v_accvgpr_write_b32 a69, 0
	.loc	1 67 51                         ; fp8_utils_aot.py:67:51
	s_cmp_ge_i32 s52, s6
	.loc	1 67 20                         ; fp8_utils_aot.py:67:20
	s_cbranch_scc0 .LBB0_413
.LBB0_348:                              ;   in Loop: Header=BB0_263 Depth=1
	.loc	1 0 20                          ; fp8_utils_aot.py:0:20
	v_accvgpr_write_b32 a70, 0
	.loc	1 67 51                         ; fp8_utils_aot.py:67:51
	s_cmp_ge_i32 s53, s6
	.loc	1 67 20                         ; fp8_utils_aot.py:67:20
	s_cbranch_scc0 .LBB0_414
.LBB0_349:                              ;   in Loop: Header=BB0_263 Depth=1
	.loc	1 0 20                          ; fp8_utils_aot.py:0:20
	v_accvgpr_write_b32 a71, 0
	.loc	1 67 51                         ; fp8_utils_aot.py:67:51
	s_cmp_ge_i32 s54, s6
	.loc	1 67 20                         ; fp8_utils_aot.py:67:20
	s_cbranch_scc0 .LBB0_415
.LBB0_350:                              ;   in Loop: Header=BB0_263 Depth=1
	.loc	1 0 20                          ; fp8_utils_aot.py:0:20
	v_accvgpr_write_b32 a72, 0
	.loc	1 67 51                         ; fp8_utils_aot.py:67:51
	s_cmp_ge_i32 s55, s6
	.loc	1 67 20                         ; fp8_utils_aot.py:67:20
	s_cbranch_scc0 .LBB0_416
.LBB0_351:                              ;   in Loop: Header=BB0_263 Depth=1
	.loc	1 0 20                          ; fp8_utils_aot.py:0:20
	v_accvgpr_write_b32 a73, 0
	.loc	1 67 51                         ; fp8_utils_aot.py:67:51
	s_cmp_ge_i32 s56, s6
	.loc	1 67 20                         ; fp8_utils_aot.py:67:20
	s_cbranch_scc0 .LBB0_417
.LBB0_352:                              ;   in Loop: Header=BB0_263 Depth=1
	.loc	1 0 20                          ; fp8_utils_aot.py:0:20
	v_accvgpr_write_b32 a74, 0
	.loc	1 67 51                         ; fp8_utils_aot.py:67:51
	s_cmp_ge_i32 s57, s6
	.loc	1 67 20                         ; fp8_utils_aot.py:67:20
	s_cbranch_scc0 .LBB0_418
.LBB0_353:                              ;   in Loop: Header=BB0_263 Depth=1
	.loc	1 0 20                          ; fp8_utils_aot.py:0:20
	v_accvgpr_write_b32 a75, 0
	.loc	1 67 51                         ; fp8_utils_aot.py:67:51
	s_cmp_ge_i32 s58, s6
	.loc	1 67 20                         ; fp8_utils_aot.py:67:20
	s_cbranch_scc0 .LBB0_419
.LBB0_354:                              ;   in Loop: Header=BB0_263 Depth=1
	.loc	1 0 20                          ; fp8_utils_aot.py:0:20
	v_accvgpr_write_b32 a76, 0
	.loc	1 67 51                         ; fp8_utils_aot.py:67:51
	s_cmp_ge_i32 s59, s6
	.loc	1 67 20                         ; fp8_utils_aot.py:67:20
	s_cbranch_scc0 .LBB0_420
.LBB0_355:                              ;   in Loop: Header=BB0_263 Depth=1
	.loc	1 0 20                          ; fp8_utils_aot.py:0:20
	v_accvgpr_write_b32 a77, 0
	.loc	1 67 51                         ; fp8_utils_aot.py:67:51
	s_cmp_ge_i32 s60, s6
	.loc	1 67 20                         ; fp8_utils_aot.py:67:20
	s_cbranch_scc0 .LBB0_421
.LBB0_356:                              ;   in Loop: Header=BB0_263 Depth=1
	.loc	1 0 20                          ; fp8_utils_aot.py:0:20
	v_accvgpr_write_b32 a78, 0
	.loc	1 67 51                         ; fp8_utils_aot.py:67:51
	s_cmp_ge_i32 s61, s6
	.loc	1 67 20                         ; fp8_utils_aot.py:67:20
	s_cbranch_scc0 .LBB0_422
.LBB0_357:                              ;   in Loop: Header=BB0_263 Depth=1
	.loc	1 0 20                          ; fp8_utils_aot.py:0:20
	v_accvgpr_write_b32 a79, 0
	.loc	1 67 51                         ; fp8_utils_aot.py:67:51
	s_cmp_ge_i32 s23, s6
	.loc	1 67 20                         ; fp8_utils_aot.py:67:20
	s_cbranch_scc0 .LBB0_423
.LBB0_358:                              ;   in Loop: Header=BB0_263 Depth=1
	.loc	1 0 20                          ; fp8_utils_aot.py:0:20
	v_accvgpr_write_b32 a80, 0
	.loc	1 67 51                         ; fp8_utils_aot.py:67:51
	s_cmp_ge_i32 s62, s6
	.loc	1 67 20                         ; fp8_utils_aot.py:67:20
	s_cbranch_scc0 .LBB0_424
.LBB0_359:                              ;   in Loop: Header=BB0_263 Depth=1
	.loc	1 0 20                          ; fp8_utils_aot.py:0:20
	v_accvgpr_write_b32 a81, 0
	.loc	1 67 51                         ; fp8_utils_aot.py:67:51
	s_cmp_ge_i32 s63, s6
	.loc	1 67 20                         ; fp8_utils_aot.py:67:20
	s_cbranch_scc0 .LBB0_425
.LBB0_360:                              ;   in Loop: Header=BB0_263 Depth=1
	.loc	1 0 20                          ; fp8_utils_aot.py:0:20
	v_accvgpr_write_b32 a82, 0
	.loc	1 67 51                         ; fp8_utils_aot.py:67:51
	s_cmp_ge_i32 s64, s6
	.loc	1 67 20                         ; fp8_utils_aot.py:67:20
	s_cbranch_scc0 .LBB0_426
.LBB0_361:                              ;   in Loop: Header=BB0_263 Depth=1
	.loc	1 0 20                          ; fp8_utils_aot.py:0:20
	v_accvgpr_write_b32 a83, 0
	.loc	1 67 51                         ; fp8_utils_aot.py:67:51
	s_cmp_ge_i32 s65, s6
	.loc	1 67 20                         ; fp8_utils_aot.py:67:20
	s_cbranch_scc0 .LBB0_427
.LBB0_362:                              ;   in Loop: Header=BB0_263 Depth=1
	.loc	1 0 20                          ; fp8_utils_aot.py:0:20
	v_accvgpr_write_b32 a84, 0
	.loc	1 67 51                         ; fp8_utils_aot.py:67:51
	s_cmp_ge_i32 s66, s6
	.loc	1 67 20                         ; fp8_utils_aot.py:67:20
	s_cbranch_scc0 .LBB0_428
.LBB0_363:                              ;   in Loop: Header=BB0_263 Depth=1
	.loc	1 0 20                          ; fp8_utils_aot.py:0:20
	v_accvgpr_write_b32 a85, 0
	.loc	1 67 51                         ; fp8_utils_aot.py:67:51
	s_cmp_ge_i32 s67, s6
	.loc	1 67 20                         ; fp8_utils_aot.py:67:20
	s_cbranch_scc0 .LBB0_429
.LBB0_364:                              ;   in Loop: Header=BB0_263 Depth=1
	.loc	1 0 20                          ; fp8_utils_aot.py:0:20
	v_accvgpr_write_b32 a86, 0
	.loc	1 67 51                         ; fp8_utils_aot.py:67:51
	s_cmp_ge_i32 s68, s6
	.loc	1 67 20                         ; fp8_utils_aot.py:67:20
	s_cbranch_scc0 .LBB0_430
.LBB0_365:                              ;   in Loop: Header=BB0_263 Depth=1
	.loc	1 0 20                          ; fp8_utils_aot.py:0:20
	v_accvgpr_write_b32 a87, 0
	.loc	1 67 51                         ; fp8_utils_aot.py:67:51
	s_cmp_ge_i32 s69, s6
	.loc	1 67 20                         ; fp8_utils_aot.py:67:20
	s_cbranch_scc0 .LBB0_431
.LBB0_366:                              ;   in Loop: Header=BB0_263 Depth=1
	.loc	1 0 20                          ; fp8_utils_aot.py:0:20
	v_accvgpr_write_b32 a88, 0
	.loc	1 67 51                         ; fp8_utils_aot.py:67:51
	s_cmp_ge_i32 s70, s6
	.loc	1 67 20                         ; fp8_utils_aot.py:67:20
	s_cbranch_scc0 .LBB0_432
.LBB0_367:                              ;   in Loop: Header=BB0_263 Depth=1
	.loc	1 0 20                          ; fp8_utils_aot.py:0:20
	v_accvgpr_write_b32 a89, 0
	.loc	1 67 51                         ; fp8_utils_aot.py:67:51
	s_cmp_ge_i32 s73, s6
	.loc	1 67 20                         ; fp8_utils_aot.py:67:20
	s_cbranch_scc0 .LBB0_433
.LBB0_368:                              ;   in Loop: Header=BB0_263 Depth=1
	.loc	1 0 20                          ; fp8_utils_aot.py:0:20
	v_accvgpr_write_b32 a90, 0
	.loc	1 67 51                         ; fp8_utils_aot.py:67:51
	s_cmp_ge_i32 s74, s6
	.loc	1 67 20                         ; fp8_utils_aot.py:67:20
	s_cbranch_scc0 .LBB0_434
.LBB0_369:                              ;   in Loop: Header=BB0_263 Depth=1
	.loc	1 0 20                          ; fp8_utils_aot.py:0:20
	v_accvgpr_write_b32 a91, 0
	.loc	1 67 51                         ; fp8_utils_aot.py:67:51
	s_cmp_ge_i32 s76, s6
	.loc	1 67 20                         ; fp8_utils_aot.py:67:20
	s_cbranch_scc0 .LBB0_435
.LBB0_370:                              ;   in Loop: Header=BB0_263 Depth=1
	.loc	1 0 20                          ; fp8_utils_aot.py:0:20
	v_accvgpr_write_b32 a92, 0
	.loc	1 67 51                         ; fp8_utils_aot.py:67:51
	s_cmp_ge_i32 s77, s6
	.loc	1 67 20                         ; fp8_utils_aot.py:67:20
	s_cbranch_scc0 .LBB0_436
.LBB0_371:                              ;   in Loop: Header=BB0_263 Depth=1
	.loc	1 0 20                          ; fp8_utils_aot.py:0:20
	v_accvgpr_write_b32 a93, 0
	.loc	1 67 51                         ; fp8_utils_aot.py:67:51
	s_cmp_ge_i32 s79, s6
	.loc	1 67 20                         ; fp8_utils_aot.py:67:20
	s_cbranch_scc0 .LBB0_437
.LBB0_372:                              ;   in Loop: Header=BB0_263 Depth=1
	.loc	1 0 20                          ; fp8_utils_aot.py:0:20
	v_accvgpr_write_b32 a94, 0
	.loc	1 67 51                         ; fp8_utils_aot.py:67:51
	s_cmp_ge_i32 s81, s6
	.loc	1 67 20                         ; fp8_utils_aot.py:67:20
	s_cbranch_scc0 .LBB0_438
.LBB0_373:                              ;   in Loop: Header=BB0_263 Depth=1
	.loc	1 0 20                          ; fp8_utils_aot.py:0:20
	v_accvgpr_write_b32 a95, 0
	.loc	1 67 51                         ; fp8_utils_aot.py:67:51
	s_cmp_ge_i32 s82, s6
	.loc	1 67 20                         ; fp8_utils_aot.py:67:20
	s_cbranch_scc0 .LBB0_439
.LBB0_374:                              ;   in Loop: Header=BB0_263 Depth=1
	.loc	1 0 20                          ; fp8_utils_aot.py:0:20
	v_accvgpr_write_b32 a96, 0
	.loc	1 67 51                         ; fp8_utils_aot.py:67:51
	s_cmp_ge_i32 s84, s6
	.loc	1 67 20                         ; fp8_utils_aot.py:67:20
	s_cbranch_scc0 .LBB0_440
.LBB0_375:                              ;   in Loop: Header=BB0_263 Depth=1
	.loc	1 0 20                          ; fp8_utils_aot.py:0:20
	v_accvgpr_write_b32 a97, 0
	.loc	1 67 51                         ; fp8_utils_aot.py:67:51
	s_cmp_ge_i32 s85, s6
	.loc	1 67 20                         ; fp8_utils_aot.py:67:20
	s_cbranch_scc0 .LBB0_441
.LBB0_376:                              ;   in Loop: Header=BB0_263 Depth=1
	.loc	1 0 20                          ; fp8_utils_aot.py:0:20
	v_accvgpr_write_b32 a98, 0
	.loc	1 67 51                         ; fp8_utils_aot.py:67:51
	s_cmp_ge_i32 s88, s6
	.loc	1 67 20                         ; fp8_utils_aot.py:67:20
	s_cbranch_scc0 .LBB0_442
.LBB0_377:                              ;   in Loop: Header=BB0_263 Depth=1
	.loc	1 0 20                          ; fp8_utils_aot.py:0:20
	v_accvgpr_write_b32 a99, 0
	.loc	1 67 51                         ; fp8_utils_aot.py:67:51
	s_cmp_ge_i32 s90, s6
	.loc	1 67 20                         ; fp8_utils_aot.py:67:20
	s_cbranch_scc0 .LBB0_443
.LBB0_378:                              ;   in Loop: Header=BB0_263 Depth=1
	.loc	1 0 20                          ; fp8_utils_aot.py:0:20
	v_accvgpr_write_b32 a100, 0
	.loc	1 67 51                         ; fp8_utils_aot.py:67:51
	s_cmp_ge_i32 s91, s6
	.loc	1 67 20                         ; fp8_utils_aot.py:67:20
	s_cbranch_scc0 .LBB0_444
.LBB0_379:                              ;   in Loop: Header=BB0_263 Depth=1
	.loc	1 0 20                          ; fp8_utils_aot.py:0:20
	v_accvgpr_write_b32 a101, 0
	.loc	1 67 51                         ; fp8_utils_aot.py:67:51
	s_cmp_ge_i32 s93, s6
	.loc	1 67 20                         ; fp8_utils_aot.py:67:20
	s_cbranch_scc0 .LBB0_445
.LBB0_380:                              ;   in Loop: Header=BB0_263 Depth=1
	.loc	1 0 20                          ; fp8_utils_aot.py:0:20
	v_accvgpr_write_b32 a102, 0
	.loc	1 67 51                         ; fp8_utils_aot.py:67:51
	s_cmp_ge_i32 s94, s6
	.loc	1 67 20                         ; fp8_utils_aot.py:67:20
	s_cbranch_scc0 .LBB0_446
.LBB0_381:                              ;   in Loop: Header=BB0_263 Depth=1
	.loc	1 0 20                          ; fp8_utils_aot.py:0:20
	v_accvgpr_write_b32 a103, 0
	.loc	1 67 51                         ; fp8_utils_aot.py:67:51
	s_cmp_ge_i32 s96, s6
	.loc	1 67 20                         ; fp8_utils_aot.py:67:20
	s_cbranch_scc0 .LBB0_447
.LBB0_382:                              ;   in Loop: Header=BB0_263 Depth=1
	.loc	1 0 20                          ; fp8_utils_aot.py:0:20
	v_accvgpr_write_b32 a104, 0
	.loc	1 67 51                         ; fp8_utils_aot.py:67:51
	s_cmp_ge_i32 s98, s6
	.loc	1 67 20                         ; fp8_utils_aot.py:67:20
	s_cbranch_scc0 .LBB0_448
.LBB0_383:                              ;   in Loop: Header=BB0_263 Depth=1
	.loc	1 0 20                          ; fp8_utils_aot.py:0:20
	v_accvgpr_write_b32 a105, 0
	.loc	1 67 51                         ; fp8_utils_aot.py:67:51
	s_cmp_ge_i32 s99, s6
	.loc	1 67 20                         ; fp8_utils_aot.py:67:20
	s_cbranch_scc0 .LBB0_449
.LBB0_384:                              ;   in Loop: Header=BB0_263 Depth=1
	.loc	1 0 20                          ; fp8_utils_aot.py:0:20
	v_accvgpr_write_b32 a106, 0
	.loc	1 67 51                         ; fp8_utils_aot.py:67:51
	s_cmp_ge_i32 s7, s6
	.loc	1 67 20                         ; fp8_utils_aot.py:67:20
	s_cbranch_scc0 .LBB0_450
.LBB0_385:                              ;   in Loop: Header=BB0_263 Depth=1
	.loc	1 0 20                          ; fp8_utils_aot.py:0:20
	v_accvgpr_write_b32 a107, 0
	.loc	1 67 51                         ; fp8_utils_aot.py:67:51
	s_cmp_ge_i32 s78, s6
	.loc	1 67 20                         ; fp8_utils_aot.py:67:20
	s_cbranch_scc0 .LBB0_451
.LBB0_386:                              ;   in Loop: Header=BB0_263 Depth=1
	.loc	1 0 20                          ; fp8_utils_aot.py:0:20
	v_accvgpr_write_b32 a108, 0
	.loc	1 67 51                         ; fp8_utils_aot.py:67:51
	s_cmp_ge_i32 s83, s6
	.loc	1 67 20                         ; fp8_utils_aot.py:67:20
	s_cbranch_scc0 .LBB0_452
.LBB0_387:                              ;   in Loop: Header=BB0_263 Depth=1
	.loc	1 0 20                          ; fp8_utils_aot.py:0:20
	v_accvgpr_write_b32 a109, 0
	.loc	1 67 51                         ; fp8_utils_aot.py:67:51
	s_cmp_ge_i32 s86, s6
	.loc	1 67 20                         ; fp8_utils_aot.py:67:20
	s_cbranch_scc0 .LBB0_453
.LBB0_388:                              ;   in Loop: Header=BB0_263 Depth=1
	.loc	1 0 20                          ; fp8_utils_aot.py:0:20
	v_accvgpr_write_b32 a110, 0
	.loc	1 67 51                         ; fp8_utils_aot.py:67:51
	s_cmp_ge_i32 s92, s6
	.loc	1 67 20                         ; fp8_utils_aot.py:67:20
	s_cbranch_scc0 .LBB0_261
	s_branch .LBB0_454
.LBB0_389:                              ;   in Loop: Header=BB0_263 Depth=1
	.loc	1 75 18 is_stmt 1               ; fp8_utils_aot.py:75:18
	v_lshl_add_u64 v[0:1], s[2:3], 0, v[232:233]
	.loc	1 66 20                         ; fp8_utils_aot.py:66:20
	global_load_ubyte a46, v[0:1], off
	s_or_b64 exec, exec, s[8:9]
	s_and_saveexec_b64 s[8:9], vcc
	s_cbranch_execz .LBB0_323
.LBB0_390:                              ;   in Loop: Header=BB0_263 Depth=1
	.loc	1 75 18                         ; fp8_utils_aot.py:75:18
	v_lshl_add_u64 v[0:1], s[2:3], 0, v[230:231]
	.loc	1 66 20                         ; fp8_utils_aot.py:66:20
	global_load_ubyte a45, v[0:1], off
	s_or_b64 exec, exec, s[8:9]
	v_accvgpr_write_b32 a47, 0
	s_and_saveexec_b64 s[8:9], vcc
	s_cbranch_execnz .LBB0_324
	s_branch .LBB0_325
.LBB0_391:                              ;   in Loop: Header=BB0_263 Depth=1
	.loc	1 0 20 is_stmt 0                ; fp8_utils_aot.py:0:20
	v_accvgpr_write_b32 a48, 0
	.loc	1 67 51 is_stmt 1               ; fp8_utils_aot.py:67:51
	s_cmp_ge_i32 s29, s6
	.loc	1 67 20 is_stmt 0               ; fp8_utils_aot.py:67:20
	s_cbranch_scc1 .LBB0_327
.LBB0_392:                              ;   in Loop: Header=BB0_263 Depth=1
	.loc	1 0 20                          ; fp8_utils_aot.py:0:20
	v_accvgpr_read_b32 v0, a128
	v_accvgpr_read_b32 v1, a129
	.loc	1 76 18 is_stmt 1               ; fp8_utils_aot.py:76:18
	v_lshl_add_u64 v[0:1], s[4:5], 0, v[0:1]
	.loc	1 67 20                         ; fp8_utils_aot.py:67:20
	global_load_ubyte a49, v[0:1], off
	.loc	1 67 51 is_stmt 0               ; fp8_utils_aot.py:67:51
	s_cmp_ge_i32 s30, s6
	.loc	1 67 20                         ; fp8_utils_aot.py:67:20
	s_cbranch_scc1 .LBB0_328
.LBB0_393:                              ;   in Loop: Header=BB0_263 Depth=1
	.loc	1 0 20                          ; fp8_utils_aot.py:0:20
	v_accvgpr_read_b32 v0, a130
	v_accvgpr_read_b32 v1, a131
	.loc	1 76 18 is_stmt 1               ; fp8_utils_aot.py:76:18
	v_lshl_add_u64 v[0:1], s[4:5], 0, v[0:1]
	.loc	1 67 20                         ; fp8_utils_aot.py:67:20
	global_load_ubyte a50, v[0:1], off
	.loc	1 67 51 is_stmt 0               ; fp8_utils_aot.py:67:51
	s_cmp_ge_i32 s31, s6
	.loc	1 67 20                         ; fp8_utils_aot.py:67:20
	s_cbranch_scc1 .LBB0_329
.LBB0_394:                              ;   in Loop: Header=BB0_263 Depth=1
	.loc	1 0 20                          ; fp8_utils_aot.py:0:20
	v_accvgpr_read_b32 v0, a132
	v_accvgpr_read_b32 v1, a133
	.loc	1 76 18 is_stmt 1               ; fp8_utils_aot.py:76:18
	v_lshl_add_u64 v[0:1], s[4:5], 0, v[0:1]
	.loc	1 67 20                         ; fp8_utils_aot.py:67:20
	global_load_ubyte a51, v[0:1], off
	.loc	1 67 51 is_stmt 0               ; fp8_utils_aot.py:67:51
	s_cmp_ge_i32 s33, s6
	.loc	1 67 20                         ; fp8_utils_aot.py:67:20
	s_cbranch_scc1 .LBB0_330
.LBB0_395:                              ;   in Loop: Header=BB0_263 Depth=1
	.loc	1 0 20                          ; fp8_utils_aot.py:0:20
	v_accvgpr_read_b32 v0, a134
	v_accvgpr_read_b32 v1, a135
	.loc	1 76 18 is_stmt 1               ; fp8_utils_aot.py:76:18
	v_lshl_add_u64 v[0:1], s[4:5], 0, v[0:1]
	.loc	1 67 20                         ; fp8_utils_aot.py:67:20
	global_load_ubyte a52, v[0:1], off
	.loc	1 67 51 is_stmt 0               ; fp8_utils_aot.py:67:51
	s_cmp_ge_i32 s34, s6
	.loc	1 67 20                         ; fp8_utils_aot.py:67:20
	s_cbranch_scc1 .LBB0_331
.LBB0_396:                              ;   in Loop: Header=BB0_263 Depth=1
	.loc	1 0 20                          ; fp8_utils_aot.py:0:20
	v_accvgpr_read_b32 v0, a136
	v_accvgpr_read_b32 v1, a137
	.loc	1 76 18 is_stmt 1               ; fp8_utils_aot.py:76:18
	v_lshl_add_u64 v[0:1], s[4:5], 0, v[0:1]
	.loc	1 67 20                         ; fp8_utils_aot.py:67:20
	global_load_ubyte a53, v[0:1], off
	.loc	1 67 51 is_stmt 0               ; fp8_utils_aot.py:67:51
	s_cmp_ge_i32 s35, s6
	.loc	1 67 20                         ; fp8_utils_aot.py:67:20
	s_cbranch_scc1 .LBB0_332
.LBB0_397:                              ;   in Loop: Header=BB0_263 Depth=1
	.loc	1 0 20                          ; fp8_utils_aot.py:0:20
	v_accvgpr_read_b32 v0, a138
	v_accvgpr_read_b32 v1, a139
	.loc	1 76 18 is_stmt 1               ; fp8_utils_aot.py:76:18
	v_lshl_add_u64 v[0:1], s[4:5], 0, v[0:1]
	.loc	1 67 20                         ; fp8_utils_aot.py:67:20
	global_load_ubyte a54, v[0:1], off
	.loc	1 67 51 is_stmt 0               ; fp8_utils_aot.py:67:51
	s_cmp_ge_i32 s36, s6
	.loc	1 67 20                         ; fp8_utils_aot.py:67:20
	s_cbranch_scc1 .LBB0_333
.LBB0_398:                              ;   in Loop: Header=BB0_263 Depth=1
	.loc	1 0 20                          ; fp8_utils_aot.py:0:20
	v_accvgpr_read_b32 v0, a140
	v_accvgpr_read_b32 v1, a141
	.loc	1 76 18 is_stmt 1               ; fp8_utils_aot.py:76:18
	v_lshl_add_u64 v[0:1], s[4:5], 0, v[0:1]
	.loc	1 67 20                         ; fp8_utils_aot.py:67:20
	global_load_ubyte a55, v[0:1], off
	.loc	1 67 51 is_stmt 0               ; fp8_utils_aot.py:67:51
	s_cmp_ge_i32 s37, s6
	.loc	1 67 20                         ; fp8_utils_aot.py:67:20
	s_cbranch_scc1 .LBB0_334
.LBB0_399:                              ;   in Loop: Header=BB0_263 Depth=1
	.loc	1 0 20                          ; fp8_utils_aot.py:0:20
	v_accvgpr_read_b32 v0, a142
	v_accvgpr_read_b32 v1, a143
	.loc	1 76 18 is_stmt 1               ; fp8_utils_aot.py:76:18
	v_lshl_add_u64 v[0:1], s[4:5], 0, v[0:1]
	.loc	1 67 20                         ; fp8_utils_aot.py:67:20
	global_load_ubyte a56, v[0:1], off
	.loc	1 67 51 is_stmt 0               ; fp8_utils_aot.py:67:51
	s_cmp_ge_i32 s38, s6
	.loc	1 67 20                         ; fp8_utils_aot.py:67:20
	s_cbranch_scc1 .LBB0_335
.LBB0_400:                              ;   in Loop: Header=BB0_263 Depth=1
	.loc	1 0 20                          ; fp8_utils_aot.py:0:20
	v_accvgpr_read_b32 v0, a144
	v_accvgpr_read_b32 v1, a145
	.loc	1 76 18 is_stmt 1               ; fp8_utils_aot.py:76:18
	v_lshl_add_u64 v[0:1], s[4:5], 0, v[0:1]
	.loc	1 67 20                         ; fp8_utils_aot.py:67:20
	global_load_ubyte a57, v[0:1], off
	.loc	1 67 51 is_stmt 0               ; fp8_utils_aot.py:67:51
	s_cmp_ge_i32 s39, s6
	.loc	1 67 20                         ; fp8_utils_aot.py:67:20
	s_cbranch_scc1 .LBB0_336
.LBB0_401:                              ;   in Loop: Header=BB0_263 Depth=1
	.loc	1 0 20                          ; fp8_utils_aot.py:0:20
	v_accvgpr_read_b32 v0, a146
	v_accvgpr_read_b32 v1, a147
	.loc	1 76 18 is_stmt 1               ; fp8_utils_aot.py:76:18
	v_lshl_add_u64 v[0:1], s[4:5], 0, v[0:1]
	.loc	1 67 20                         ; fp8_utils_aot.py:67:20
	global_load_ubyte a58, v[0:1], off
	.loc	1 67 51 is_stmt 0               ; fp8_utils_aot.py:67:51
	s_cmp_ge_i32 s41, s6
	.loc	1 67 20                         ; fp8_utils_aot.py:67:20
	s_cbranch_scc1 .LBB0_337
.LBB0_402:                              ;   in Loop: Header=BB0_263 Depth=1
	.loc	1 0 20                          ; fp8_utils_aot.py:0:20
	v_accvgpr_read_b32 v0, a148
	v_accvgpr_read_b32 v1, a149
	.loc	1 76 18 is_stmt 1               ; fp8_utils_aot.py:76:18
	v_lshl_add_u64 v[0:1], s[4:5], 0, v[0:1]
	.loc	1 67 20                         ; fp8_utils_aot.py:67:20
	global_load_ubyte a59, v[0:1], off
	.loc	1 67 51 is_stmt 0               ; fp8_utils_aot.py:67:51
	s_cmp_ge_i32 s42, s6
	.loc	1 67 20                         ; fp8_utils_aot.py:67:20
	s_cbranch_scc1 .LBB0_338
.LBB0_403:                              ;   in Loop: Header=BB0_263 Depth=1
	.loc	1 0 20                          ; fp8_utils_aot.py:0:20
	v_accvgpr_read_b32 v0, a152
	v_accvgpr_read_b32 v1, a153
	.loc	1 76 18 is_stmt 1               ; fp8_utils_aot.py:76:18
	v_lshl_add_u64 v[0:1], s[4:5], 0, v[0:1]
	.loc	1 67 20                         ; fp8_utils_aot.py:67:20
	global_load_ubyte a60, v[0:1], off
	.loc	1 67 51 is_stmt 0               ; fp8_utils_aot.py:67:51
	s_cmp_ge_i32 s43, s6
	.loc	1 67 20                         ; fp8_utils_aot.py:67:20
	s_cbranch_scc1 .LBB0_339
.LBB0_404:                              ;   in Loop: Header=BB0_263 Depth=1
	.loc	1 0 20                          ; fp8_utils_aot.py:0:20
	v_accvgpr_read_b32 v0, a154
	v_accvgpr_read_b32 v1, a155
	.loc	1 76 18 is_stmt 1               ; fp8_utils_aot.py:76:18
	v_lshl_add_u64 v[0:1], s[4:5], 0, v[0:1]
	.loc	1 67 20                         ; fp8_utils_aot.py:67:20
	global_load_ubyte a61, v[0:1], off
	.loc	1 67 51 is_stmt 0               ; fp8_utils_aot.py:67:51
	s_cmp_ge_i32 s44, s6
	.loc	1 67 20                         ; fp8_utils_aot.py:67:20
	s_cbranch_scc1 .LBB0_340
.LBB0_405:                              ;   in Loop: Header=BB0_263 Depth=1
	.loc	1 0 20                          ; fp8_utils_aot.py:0:20
	v_accvgpr_read_b32 v0, a156
	v_accvgpr_read_b32 v1, a157
	.loc	1 76 18 is_stmt 1               ; fp8_utils_aot.py:76:18
	v_lshl_add_u64 v[0:1], s[4:5], 0, v[0:1]
	.loc	1 67 20                         ; fp8_utils_aot.py:67:20
	global_load_ubyte a62, v[0:1], off
	.loc	1 67 51 is_stmt 0               ; fp8_utils_aot.py:67:51
	s_cmp_ge_i32 s45, s6
	.loc	1 67 20                         ; fp8_utils_aot.py:67:20
	s_cbranch_scc1 .LBB0_341
.LBB0_406:                              ;   in Loop: Header=BB0_263 Depth=1
	.loc	1 0 20                          ; fp8_utils_aot.py:0:20
	v_accvgpr_read_b32 v0, a158
	v_accvgpr_read_b32 v1, a159
	.loc	1 76 18 is_stmt 1               ; fp8_utils_aot.py:76:18
	v_lshl_add_u64 v[0:1], s[4:5], 0, v[0:1]
	.loc	1 67 20                         ; fp8_utils_aot.py:67:20
	global_load_ubyte a63, v[0:1], off
	.loc	1 67 51 is_stmt 0               ; fp8_utils_aot.py:67:51
	s_cmp_ge_i32 s46, s6
	.loc	1 67 20                         ; fp8_utils_aot.py:67:20
	s_cbranch_scc1 .LBB0_342
.LBB0_407:                              ;   in Loop: Header=BB0_263 Depth=1
	.loc	1 0 20                          ; fp8_utils_aot.py:0:20
	v_accvgpr_read_b32 v0, a160
	v_accvgpr_read_b32 v1, a161
	.loc	1 76 18 is_stmt 1               ; fp8_utils_aot.py:76:18
	v_lshl_add_u64 v[0:1], s[4:5], 0, v[0:1]
	.loc	1 67 20                         ; fp8_utils_aot.py:67:20
	global_load_ubyte a64, v[0:1], off
	.loc	1 67 51 is_stmt 0               ; fp8_utils_aot.py:67:51
	s_cmp_ge_i32 s47, s6
	.loc	1 67 20                         ; fp8_utils_aot.py:67:20
	s_cbranch_scc1 .LBB0_343
.LBB0_408:                              ;   in Loop: Header=BB0_263 Depth=1
	.loc	1 0 20                          ; fp8_utils_aot.py:0:20
	v_accvgpr_read_b32 v0, a162
	v_accvgpr_read_b32 v1, a163
	.loc	1 76 18 is_stmt 1               ; fp8_utils_aot.py:76:18
	v_lshl_add_u64 v[0:1], s[4:5], 0, v[0:1]
	.loc	1 67 20                         ; fp8_utils_aot.py:67:20
	global_load_ubyte a65, v[0:1], off
	.loc	1 67 51 is_stmt 0               ; fp8_utils_aot.py:67:51
	s_cmp_ge_i32 s48, s6
	.loc	1 67 20                         ; fp8_utils_aot.py:67:20
	s_cbranch_scc1 .LBB0_344
.LBB0_409:                              ;   in Loop: Header=BB0_263 Depth=1
	.loc	1 0 20                          ; fp8_utils_aot.py:0:20
	v_accvgpr_read_b32 v0, a164
	v_accvgpr_read_b32 v1, a165
	.loc	1 76 18 is_stmt 1               ; fp8_utils_aot.py:76:18
	v_lshl_add_u64 v[0:1], s[4:5], 0, v[0:1]
	.loc	1 67 20                         ; fp8_utils_aot.py:67:20
	global_load_ubyte a66, v[0:1], off
	.loc	1 67 51 is_stmt 0               ; fp8_utils_aot.py:67:51
	s_cmp_ge_i32 s49, s6
	.loc	1 67 20                         ; fp8_utils_aot.py:67:20
	s_cbranch_scc1 .LBB0_345
.LBB0_410:                              ;   in Loop: Header=BB0_263 Depth=1
	.loc	1 0 20                          ; fp8_utils_aot.py:0:20
	v_accvgpr_read_b32 v0, a166
	v_accvgpr_read_b32 v1, a167
	.loc	1 76 18 is_stmt 1               ; fp8_utils_aot.py:76:18
	v_lshl_add_u64 v[0:1], s[4:5], 0, v[0:1]
	.loc	1 67 20                         ; fp8_utils_aot.py:67:20
	global_load_ubyte a67, v[0:1], off
	.loc	1 67 51 is_stmt 0               ; fp8_utils_aot.py:67:51
	s_cmp_ge_i32 s50, s6
	.loc	1 67 20                         ; fp8_utils_aot.py:67:20
	s_cbranch_scc1 .LBB0_346
.LBB0_411:                              ;   in Loop: Header=BB0_263 Depth=1
	.loc	1 0 20                          ; fp8_utils_aot.py:0:20
	v_accvgpr_read_b32 v0, a168
	v_accvgpr_read_b32 v1, a169
	.loc	1 76 18 is_stmt 1               ; fp8_utils_aot.py:76:18
	v_lshl_add_u64 v[0:1], s[4:5], 0, v[0:1]
	.loc	1 67 20                         ; fp8_utils_aot.py:67:20
	global_load_ubyte a68, v[0:1], off
	.loc	1 67 51 is_stmt 0               ; fp8_utils_aot.py:67:51
	s_cmp_ge_i32 s51, s6
	.loc	1 67 20                         ; fp8_utils_aot.py:67:20
	s_cbranch_scc1 .LBB0_347
.LBB0_412:                              ;   in Loop: Header=BB0_263 Depth=1
	.loc	1 0 20                          ; fp8_utils_aot.py:0:20
	v_accvgpr_read_b32 v0, a170
	v_accvgpr_read_b32 v1, a171
	.loc	1 76 18 is_stmt 1               ; fp8_utils_aot.py:76:18
	v_lshl_add_u64 v[0:1], s[4:5], 0, v[0:1]
	.loc	1 67 20                         ; fp8_utils_aot.py:67:20
	global_load_ubyte a69, v[0:1], off
	.loc	1 67 51 is_stmt 0               ; fp8_utils_aot.py:67:51
	s_cmp_ge_i32 s52, s6
	.loc	1 67 20                         ; fp8_utils_aot.py:67:20
	s_cbranch_scc1 .LBB0_348
.LBB0_413:                              ;   in Loop: Header=BB0_263 Depth=1
	.loc	1 0 20                          ; fp8_utils_aot.py:0:20
	v_accvgpr_read_b32 v0, a172
	v_accvgpr_read_b32 v1, a173
	.loc	1 76 18 is_stmt 1               ; fp8_utils_aot.py:76:18
	v_lshl_add_u64 v[0:1], s[4:5], 0, v[0:1]
	.loc	1 67 20                         ; fp8_utils_aot.py:67:20
	global_load_ubyte a70, v[0:1], off
	.loc	1 67 51 is_stmt 0               ; fp8_utils_aot.py:67:51
	s_cmp_ge_i32 s53, s6
	.loc	1 67 20                         ; fp8_utils_aot.py:67:20
	s_cbranch_scc1 .LBB0_349
.LBB0_414:                              ;   in Loop: Header=BB0_263 Depth=1
	.loc	1 0 20                          ; fp8_utils_aot.py:0:20
	v_accvgpr_read_b32 v0, a174
	v_accvgpr_read_b32 v1, a175
	.loc	1 76 18 is_stmt 1               ; fp8_utils_aot.py:76:18
	v_lshl_add_u64 v[0:1], s[4:5], 0, v[0:1]
	.loc	1 67 20                         ; fp8_utils_aot.py:67:20
	global_load_ubyte a71, v[0:1], off
	.loc	1 67 51 is_stmt 0               ; fp8_utils_aot.py:67:51
	s_cmp_ge_i32 s54, s6
	.loc	1 67 20                         ; fp8_utils_aot.py:67:20
	s_cbranch_scc1 .LBB0_350
.LBB0_415:                              ;   in Loop: Header=BB0_263 Depth=1
	.loc	1 0 20                          ; fp8_utils_aot.py:0:20
	v_accvgpr_read_b32 v0, a176
	v_accvgpr_read_b32 v1, a177
	.loc	1 76 18 is_stmt 1               ; fp8_utils_aot.py:76:18
	v_lshl_add_u64 v[0:1], s[4:5], 0, v[0:1]
	.loc	1 67 20                         ; fp8_utils_aot.py:67:20
	global_load_ubyte a72, v[0:1], off
	.loc	1 67 51 is_stmt 0               ; fp8_utils_aot.py:67:51
	s_cmp_ge_i32 s55, s6
	.loc	1 67 20                         ; fp8_utils_aot.py:67:20
	s_cbranch_scc1 .LBB0_351
.LBB0_416:                              ;   in Loop: Header=BB0_263 Depth=1
	.loc	1 0 20                          ; fp8_utils_aot.py:0:20
	v_accvgpr_read_b32 v0, a178
	v_accvgpr_read_b32 v1, a179
	.loc	1 76 18 is_stmt 1               ; fp8_utils_aot.py:76:18
	v_lshl_add_u64 v[0:1], s[4:5], 0, v[0:1]
	.loc	1 67 20                         ; fp8_utils_aot.py:67:20
	global_load_ubyte a73, v[0:1], off
	.loc	1 67 51 is_stmt 0               ; fp8_utils_aot.py:67:51
	s_cmp_ge_i32 s56, s6
	.loc	1 67 20                         ; fp8_utils_aot.py:67:20
	s_cbranch_scc1 .LBB0_352
.LBB0_417:                              ;   in Loop: Header=BB0_263 Depth=1
	.loc	1 0 20                          ; fp8_utils_aot.py:0:20
	v_accvgpr_read_b32 v0, a180
	v_accvgpr_read_b32 v1, a181
	.loc	1 76 18 is_stmt 1               ; fp8_utils_aot.py:76:18
	v_lshl_add_u64 v[0:1], s[4:5], 0, v[0:1]
	.loc	1 67 20                         ; fp8_utils_aot.py:67:20
	global_load_ubyte a74, v[0:1], off
	.loc	1 67 51 is_stmt 0               ; fp8_utils_aot.py:67:51
	s_cmp_ge_i32 s57, s6
	.loc	1 67 20                         ; fp8_utils_aot.py:67:20
	s_cbranch_scc1 .LBB0_353
.LBB0_418:                              ;   in Loop: Header=BB0_263 Depth=1
	.loc	1 0 20                          ; fp8_utils_aot.py:0:20
	v_accvgpr_read_b32 v0, a182
	v_accvgpr_read_b32 v1, a183
	.loc	1 76 18 is_stmt 1               ; fp8_utils_aot.py:76:18
	v_lshl_add_u64 v[0:1], s[4:5], 0, v[0:1]
	.loc	1 67 20                         ; fp8_utils_aot.py:67:20
	global_load_ubyte a75, v[0:1], off
	.loc	1 67 51 is_stmt 0               ; fp8_utils_aot.py:67:51
	s_cmp_ge_i32 s58, s6
	.loc	1 67 20                         ; fp8_utils_aot.py:67:20
	s_cbranch_scc1 .LBB0_354
.LBB0_419:                              ;   in Loop: Header=BB0_263 Depth=1
	.loc	1 0 20                          ; fp8_utils_aot.py:0:20
	v_accvgpr_read_b32 v0, a186
	v_accvgpr_read_b32 v1, a187
	.loc	1 76 18 is_stmt 1               ; fp8_utils_aot.py:76:18
	v_lshl_add_u64 v[0:1], s[4:5], 0, v[0:1]
	.loc	1 67 20                         ; fp8_utils_aot.py:67:20
	global_load_ubyte a76, v[0:1], off
	.loc	1 67 51 is_stmt 0               ; fp8_utils_aot.py:67:51
	s_cmp_ge_i32 s59, s6
	.loc	1 67 20                         ; fp8_utils_aot.py:67:20
	s_cbranch_scc1 .LBB0_355
.LBB0_420:                              ;   in Loop: Header=BB0_263 Depth=1
	.loc	1 0 20                          ; fp8_utils_aot.py:0:20
	v_accvgpr_read_b32 v0, a188
	v_accvgpr_read_b32 v1, a189
	.loc	1 76 18 is_stmt 1               ; fp8_utils_aot.py:76:18
	v_lshl_add_u64 v[0:1], s[4:5], 0, v[0:1]
	.loc	1 67 20                         ; fp8_utils_aot.py:67:20
	global_load_ubyte a77, v[0:1], off
	.loc	1 67 51 is_stmt 0               ; fp8_utils_aot.py:67:51
	s_cmp_ge_i32 s60, s6
	.loc	1 67 20                         ; fp8_utils_aot.py:67:20
	s_cbranch_scc1 .LBB0_356
.LBB0_421:                              ;   in Loop: Header=BB0_263 Depth=1
	.loc	1 0 20                          ; fp8_utils_aot.py:0:20
	v_accvgpr_read_b32 v0, a190
	v_accvgpr_read_b32 v1, a191
	.loc	1 76 18 is_stmt 1               ; fp8_utils_aot.py:76:18
	v_lshl_add_u64 v[0:1], s[4:5], 0, v[0:1]
	.loc	1 67 20                         ; fp8_utils_aot.py:67:20
	global_load_ubyte a78, v[0:1], off
	.loc	1 67 51 is_stmt 0               ; fp8_utils_aot.py:67:51
	s_cmp_ge_i32 s61, s6
	.loc	1 67 20                         ; fp8_utils_aot.py:67:20
	s_cbranch_scc1 .LBB0_357
.LBB0_422:                              ;   in Loop: Header=BB0_263 Depth=1
	.loc	1 0 20                          ; fp8_utils_aot.py:0:20
	v_accvgpr_read_b32 v0, a192
	v_accvgpr_read_b32 v1, a193
	.loc	1 76 18 is_stmt 1               ; fp8_utils_aot.py:76:18
	v_lshl_add_u64 v[0:1], s[4:5], 0, v[0:1]
	.loc	1 67 20                         ; fp8_utils_aot.py:67:20
	global_load_ubyte a79, v[0:1], off
	.loc	1 67 51 is_stmt 0               ; fp8_utils_aot.py:67:51
	s_cmp_ge_i32 s23, s6
	.loc	1 67 20                         ; fp8_utils_aot.py:67:20
	s_cbranch_scc1 .LBB0_358
.LBB0_423:                              ;   in Loop: Header=BB0_263 Depth=1
	.loc	1 0 20                          ; fp8_utils_aot.py:0:20
	v_accvgpr_read_b32 v0, a194
	v_accvgpr_read_b32 v1, a195
	.loc	1 76 18 is_stmt 1               ; fp8_utils_aot.py:76:18
	v_lshl_add_u64 v[0:1], s[4:5], 0, v[0:1]
	.loc	1 67 20                         ; fp8_utils_aot.py:67:20
	global_load_ubyte a80, v[0:1], off
	.loc	1 67 51 is_stmt 0               ; fp8_utils_aot.py:67:51
	s_cmp_ge_i32 s62, s6
	.loc	1 67 20                         ; fp8_utils_aot.py:67:20
	s_cbranch_scc1 .LBB0_359
.LBB0_424:                              ;   in Loop: Header=BB0_263 Depth=1
	.loc	1 0 20                          ; fp8_utils_aot.py:0:20
	v_accvgpr_read_b32 v0, a196
	v_accvgpr_read_b32 v1, a197
	.loc	1 76 18 is_stmt 1               ; fp8_utils_aot.py:76:18
	v_lshl_add_u64 v[0:1], s[4:5], 0, v[0:1]
	.loc	1 67 20                         ; fp8_utils_aot.py:67:20
	global_load_ubyte a81, v[0:1], off
	.loc	1 67 51 is_stmt 0               ; fp8_utils_aot.py:67:51
	s_cmp_ge_i32 s63, s6
	.loc	1 67 20                         ; fp8_utils_aot.py:67:20
	s_cbranch_scc1 .LBB0_360
.LBB0_425:                              ;   in Loop: Header=BB0_263 Depth=1
	.loc	1 0 20                          ; fp8_utils_aot.py:0:20
	v_accvgpr_read_b32 v0, a198
	v_accvgpr_read_b32 v1, a199
	.loc	1 76 18 is_stmt 1               ; fp8_utils_aot.py:76:18
	v_lshl_add_u64 v[0:1], s[4:5], 0, v[0:1]
	.loc	1 67 20                         ; fp8_utils_aot.py:67:20
	global_load_ubyte a82, v[0:1], off
	.loc	1 67 51 is_stmt 0               ; fp8_utils_aot.py:67:51
	s_cmp_ge_i32 s64, s6
	.loc	1 67 20                         ; fp8_utils_aot.py:67:20
	s_cbranch_scc1 .LBB0_361
.LBB0_426:                              ;   in Loop: Header=BB0_263 Depth=1
	.loc	1 0 20                          ; fp8_utils_aot.py:0:20
	v_accvgpr_read_b32 v0, a200
	v_accvgpr_read_b32 v1, a201
	.loc	1 76 18 is_stmt 1               ; fp8_utils_aot.py:76:18
	v_lshl_add_u64 v[0:1], s[4:5], 0, v[0:1]
	.loc	1 67 20                         ; fp8_utils_aot.py:67:20
	global_load_ubyte a83, v[0:1], off
	.loc	1 67 51 is_stmt 0               ; fp8_utils_aot.py:67:51
	s_cmp_ge_i32 s65, s6
	.loc	1 67 20                         ; fp8_utils_aot.py:67:20
	s_cbranch_scc1 .LBB0_362
.LBB0_427:                              ;   in Loop: Header=BB0_263 Depth=1
	.loc	1 0 20                          ; fp8_utils_aot.py:0:20
	v_accvgpr_read_b32 v0, a202
	v_accvgpr_read_b32 v1, a203
	.loc	1 76 18 is_stmt 1               ; fp8_utils_aot.py:76:18
	v_lshl_add_u64 v[0:1], s[4:5], 0, v[0:1]
	.loc	1 67 20                         ; fp8_utils_aot.py:67:20
	global_load_ubyte a84, v[0:1], off
	.loc	1 67 51 is_stmt 0               ; fp8_utils_aot.py:67:51
	s_cmp_ge_i32 s66, s6
	.loc	1 67 20                         ; fp8_utils_aot.py:67:20
	s_cbranch_scc1 .LBB0_363
.LBB0_428:                              ;   in Loop: Header=BB0_263 Depth=1
	.loc	1 0 20                          ; fp8_utils_aot.py:0:20
	v_accvgpr_read_b32 v0, a204
	v_accvgpr_read_b32 v1, a205
	.loc	1 76 18 is_stmt 1               ; fp8_utils_aot.py:76:18
	v_lshl_add_u64 v[0:1], s[4:5], 0, v[0:1]
	.loc	1 67 20                         ; fp8_utils_aot.py:67:20
	global_load_ubyte a85, v[0:1], off
	.loc	1 67 51 is_stmt 0               ; fp8_utils_aot.py:67:51
	s_cmp_ge_i32 s67, s6
	.loc	1 67 20                         ; fp8_utils_aot.py:67:20
	s_cbranch_scc1 .LBB0_364
.LBB0_429:                              ;   in Loop: Header=BB0_263 Depth=1
	.loc	1 0 20                          ; fp8_utils_aot.py:0:20
	v_accvgpr_read_b32 v0, a206
	v_accvgpr_read_b32 v1, a207
	.loc	1 76 18 is_stmt 1               ; fp8_utils_aot.py:76:18
	v_lshl_add_u64 v[0:1], s[4:5], 0, v[0:1]
	.loc	1 67 20                         ; fp8_utils_aot.py:67:20
	global_load_ubyte a86, v[0:1], off
	.loc	1 67 51 is_stmt 0               ; fp8_utils_aot.py:67:51
	s_cmp_ge_i32 s68, s6
	.loc	1 67 20                         ; fp8_utils_aot.py:67:20
	s_cbranch_scc1 .LBB0_365
.LBB0_430:                              ;   in Loop: Header=BB0_263 Depth=1
	.loc	1 0 20                          ; fp8_utils_aot.py:0:20
	v_accvgpr_read_b32 v0, a208
	v_accvgpr_read_b32 v1, a209
	.loc	1 76 18 is_stmt 1               ; fp8_utils_aot.py:76:18
	v_lshl_add_u64 v[0:1], s[4:5], 0, v[0:1]
	.loc	1 67 20                         ; fp8_utils_aot.py:67:20
	global_load_ubyte a87, v[0:1], off
	.loc	1 67 51 is_stmt 0               ; fp8_utils_aot.py:67:51
	s_cmp_ge_i32 s69, s6
	.loc	1 67 20                         ; fp8_utils_aot.py:67:20
	s_cbranch_scc1 .LBB0_366
.LBB0_431:                              ;   in Loop: Header=BB0_263 Depth=1
	.loc	1 76 18 is_stmt 1               ; fp8_utils_aot.py:76:18
	v_lshl_add_u64 v[0:1], s[4:5], 0, v[112:113]
	.loc	1 67 20                         ; fp8_utils_aot.py:67:20
	global_load_ubyte a88, v[0:1], off
	.loc	1 67 51 is_stmt 0               ; fp8_utils_aot.py:67:51
	s_cmp_ge_i32 s70, s6
	.loc	1 67 20                         ; fp8_utils_aot.py:67:20
	s_cbranch_scc1 .LBB0_367
.LBB0_432:                              ;   in Loop: Header=BB0_263 Depth=1
	.loc	1 76 18 is_stmt 1               ; fp8_utils_aot.py:76:18
	v_lshl_add_u64 v[0:1], s[4:5], 0, v[114:115]
	.loc	1 67 20                         ; fp8_utils_aot.py:67:20
	global_load_ubyte a89, v[0:1], off
	.loc	1 67 51 is_stmt 0               ; fp8_utils_aot.py:67:51
	s_cmp_ge_i32 s73, s6
	.loc	1 67 20                         ; fp8_utils_aot.py:67:20
	s_cbranch_scc1 .LBB0_368
.LBB0_433:                              ;   in Loop: Header=BB0_263 Depth=1
	.loc	1 76 18 is_stmt 1               ; fp8_utils_aot.py:76:18
	v_lshl_add_u64 v[0:1], s[4:5], 0, v[116:117]
	.loc	1 67 20                         ; fp8_utils_aot.py:67:20
	global_load_ubyte a90, v[0:1], off
	.loc	1 67 51 is_stmt 0               ; fp8_utils_aot.py:67:51
	s_cmp_ge_i32 s74, s6
	.loc	1 67 20                         ; fp8_utils_aot.py:67:20
	s_cbranch_scc1 .LBB0_369
.LBB0_434:                              ;   in Loop: Header=BB0_263 Depth=1
	.loc	1 76 18 is_stmt 1               ; fp8_utils_aot.py:76:18
	v_lshl_add_u64 v[0:1], s[4:5], 0, v[118:119]
	.loc	1 67 20                         ; fp8_utils_aot.py:67:20
	global_load_ubyte a91, v[0:1], off
	.loc	1 67 51 is_stmt 0               ; fp8_utils_aot.py:67:51
	s_cmp_ge_i32 s76, s6
	.loc	1 67 20                         ; fp8_utils_aot.py:67:20
	s_cbranch_scc1 .LBB0_370
.LBB0_435:                              ;   in Loop: Header=BB0_263 Depth=1
	.loc	1 76 18 is_stmt 1               ; fp8_utils_aot.py:76:18
	v_lshl_add_u64 v[0:1], s[4:5], 0, v[120:121]
	.loc	1 67 20                         ; fp8_utils_aot.py:67:20
	global_load_ubyte a92, v[0:1], off
	.loc	1 67 51 is_stmt 0               ; fp8_utils_aot.py:67:51
	s_cmp_ge_i32 s77, s6
	.loc	1 67 20                         ; fp8_utils_aot.py:67:20
	s_cbranch_scc1 .LBB0_371
.LBB0_436:                              ;   in Loop: Header=BB0_263 Depth=1
	.loc	1 76 18 is_stmt 1               ; fp8_utils_aot.py:76:18
	v_lshl_add_u64 v[0:1], s[4:5], 0, v[122:123]
	.loc	1 67 20                         ; fp8_utils_aot.py:67:20
	global_load_ubyte a93, v[0:1], off
	.loc	1 67 51 is_stmt 0               ; fp8_utils_aot.py:67:51
	s_cmp_ge_i32 s79, s6
	.loc	1 67 20                         ; fp8_utils_aot.py:67:20
	s_cbranch_scc1 .LBB0_372
.LBB0_437:                              ;   in Loop: Header=BB0_263 Depth=1
	.loc	1 76 18 is_stmt 1               ; fp8_utils_aot.py:76:18
	v_lshl_add_u64 v[0:1], s[4:5], 0, v[124:125]
	.loc	1 67 20                         ; fp8_utils_aot.py:67:20
	global_load_ubyte a94, v[0:1], off
	.loc	1 67 51 is_stmt 0               ; fp8_utils_aot.py:67:51
	s_cmp_ge_i32 s81, s6
	.loc	1 67 20                         ; fp8_utils_aot.py:67:20
	s_cbranch_scc1 .LBB0_373
.LBB0_438:                              ;   in Loop: Header=BB0_263 Depth=1
	.loc	1 76 18 is_stmt 1               ; fp8_utils_aot.py:76:18
	v_lshl_add_u64 v[0:1], s[4:5], 0, v[126:127]
	.loc	1 67 20                         ; fp8_utils_aot.py:67:20
	global_load_ubyte a95, v[0:1], off
	.loc	1 67 51 is_stmt 0               ; fp8_utils_aot.py:67:51
	s_cmp_ge_i32 s82, s6
	.loc	1 67 20                         ; fp8_utils_aot.py:67:20
	s_cbranch_scc1 .LBB0_374
.LBB0_439:                              ;   in Loop: Header=BB0_263 Depth=1
	.loc	1 76 18 is_stmt 1               ; fp8_utils_aot.py:76:18
	v_lshl_add_u64 v[0:1], s[4:5], 0, v[128:129]
	.loc	1 67 20                         ; fp8_utils_aot.py:67:20
	global_load_ubyte a96, v[0:1], off
	.loc	1 67 51 is_stmt 0               ; fp8_utils_aot.py:67:51
	s_cmp_ge_i32 s84, s6
	.loc	1 67 20                         ; fp8_utils_aot.py:67:20
	s_cbranch_scc1 .LBB0_375
.LBB0_440:                              ;   in Loop: Header=BB0_263 Depth=1
	.loc	1 76 18 is_stmt 1               ; fp8_utils_aot.py:76:18
	v_lshl_add_u64 v[0:1], s[4:5], 0, v[130:131]
	.loc	1 67 20                         ; fp8_utils_aot.py:67:20
	global_load_ubyte a97, v[0:1], off
	.loc	1 67 51 is_stmt 0               ; fp8_utils_aot.py:67:51
	s_cmp_ge_i32 s85, s6
	.loc	1 67 20                         ; fp8_utils_aot.py:67:20
	s_cbranch_scc1 .LBB0_376
.LBB0_441:                              ;   in Loop: Header=BB0_263 Depth=1
	.loc	1 76 18 is_stmt 1               ; fp8_utils_aot.py:76:18
	v_lshl_add_u64 v[0:1], s[4:5], 0, v[132:133]
	.loc	1 67 20                         ; fp8_utils_aot.py:67:20
	global_load_ubyte a98, v[0:1], off
	.loc	1 67 51 is_stmt 0               ; fp8_utils_aot.py:67:51
	s_cmp_ge_i32 s88, s6
	.loc	1 67 20                         ; fp8_utils_aot.py:67:20
	s_cbranch_scc1 .LBB0_377
.LBB0_442:                              ;   in Loop: Header=BB0_263 Depth=1
	.loc	1 76 18 is_stmt 1               ; fp8_utils_aot.py:76:18
	v_lshl_add_u64 v[0:1], s[4:5], 0, v[134:135]
	.loc	1 67 20                         ; fp8_utils_aot.py:67:20
	global_load_ubyte a99, v[0:1], off
	.loc	1 67 51 is_stmt 0               ; fp8_utils_aot.py:67:51
	s_cmp_ge_i32 s90, s6
	.loc	1 67 20                         ; fp8_utils_aot.py:67:20
	s_cbranch_scc1 .LBB0_378
.LBB0_443:                              ;   in Loop: Header=BB0_263 Depth=1
	.loc	1 76 18 is_stmt 1               ; fp8_utils_aot.py:76:18
	v_lshl_add_u64 v[0:1], s[4:5], 0, v[136:137]
	.loc	1 67 20                         ; fp8_utils_aot.py:67:20
	global_load_ubyte a100, v[0:1], off
	.loc	1 67 51 is_stmt 0               ; fp8_utils_aot.py:67:51
	s_cmp_ge_i32 s91, s6
	.loc	1 67 20                         ; fp8_utils_aot.py:67:20
	s_cbranch_scc1 .LBB0_379
.LBB0_444:                              ;   in Loop: Header=BB0_263 Depth=1
	.loc	1 76 18 is_stmt 1               ; fp8_utils_aot.py:76:18
	v_lshl_add_u64 v[0:1], s[4:5], 0, v[138:139]
	.loc	1 67 20                         ; fp8_utils_aot.py:67:20
	global_load_ubyte a101, v[0:1], off
	.loc	1 67 51 is_stmt 0               ; fp8_utils_aot.py:67:51
	s_cmp_ge_i32 s93, s6
	.loc	1 67 20                         ; fp8_utils_aot.py:67:20
	s_cbranch_scc1 .LBB0_380
.LBB0_445:                              ;   in Loop: Header=BB0_263 Depth=1
	.loc	1 76 18 is_stmt 1               ; fp8_utils_aot.py:76:18
	v_lshl_add_u64 v[0:1], s[4:5], 0, v[140:141]
	.loc	1 67 20                         ; fp8_utils_aot.py:67:20
	global_load_ubyte a102, v[0:1], off
	.loc	1 67 51 is_stmt 0               ; fp8_utils_aot.py:67:51
	s_cmp_ge_i32 s94, s6
	.loc	1 67 20                         ; fp8_utils_aot.py:67:20
	s_cbranch_scc1 .LBB0_381
.LBB0_446:                              ;   in Loop: Header=BB0_263 Depth=1
	.loc	1 76 18 is_stmt 1               ; fp8_utils_aot.py:76:18
	v_lshl_add_u64 v[0:1], s[4:5], 0, v[142:143]
	.loc	1 67 20                         ; fp8_utils_aot.py:67:20
	global_load_ubyte a103, v[0:1], off
	.loc	1 67 51 is_stmt 0               ; fp8_utils_aot.py:67:51
	s_cmp_ge_i32 s96, s6
	.loc	1 67 20                         ; fp8_utils_aot.py:67:20
	s_cbranch_scc1 .LBB0_382
.LBB0_447:                              ;   in Loop: Header=BB0_263 Depth=1
	.loc	1 76 18 is_stmt 1               ; fp8_utils_aot.py:76:18
	v_lshl_add_u64 v[0:1], s[4:5], 0, v[144:145]
	.loc	1 67 20                         ; fp8_utils_aot.py:67:20
	global_load_ubyte a104, v[0:1], off
	.loc	1 67 51 is_stmt 0               ; fp8_utils_aot.py:67:51
	s_cmp_ge_i32 s98, s6
	.loc	1 67 20                         ; fp8_utils_aot.py:67:20
	s_cbranch_scc1 .LBB0_383
.LBB0_448:                              ;   in Loop: Header=BB0_263 Depth=1
	.loc	1 76 18 is_stmt 1               ; fp8_utils_aot.py:76:18
	v_lshl_add_u64 v[0:1], s[4:5], 0, v[146:147]
	.loc	1 67 20                         ; fp8_utils_aot.py:67:20
	global_load_ubyte a105, v[0:1], off
	.loc	1 67 51 is_stmt 0               ; fp8_utils_aot.py:67:51
	s_cmp_ge_i32 s99, s6
	.loc	1 67 20                         ; fp8_utils_aot.py:67:20
	s_cbranch_scc1 .LBB0_384
.LBB0_449:                              ;   in Loop: Header=BB0_263 Depth=1
	.loc	1 76 18 is_stmt 1               ; fp8_utils_aot.py:76:18
	v_lshl_add_u64 v[0:1], s[4:5], 0, v[148:149]
	.loc	1 67 20                         ; fp8_utils_aot.py:67:20
	global_load_ubyte a106, v[0:1], off
	.loc	1 67 51 is_stmt 0               ; fp8_utils_aot.py:67:51
	s_cmp_ge_i32 s7, s6
	.loc	1 67 20                         ; fp8_utils_aot.py:67:20
	s_cbranch_scc1 .LBB0_385
.LBB0_450:                              ;   in Loop: Header=BB0_263 Depth=1
	.loc	1 76 18 is_stmt 1               ; fp8_utils_aot.py:76:18
	v_lshl_add_u64 v[0:1], s[4:5], 0, v[150:151]
	.loc	1 67 20                         ; fp8_utils_aot.py:67:20
	global_load_ubyte a107, v[0:1], off
	.loc	1 67 51 is_stmt 0               ; fp8_utils_aot.py:67:51
	s_cmp_ge_i32 s78, s6
	.loc	1 67 20                         ; fp8_utils_aot.py:67:20
	s_cbranch_scc1 .LBB0_386
.LBB0_451:                              ;   in Loop: Header=BB0_263 Depth=1
	.loc	1 76 18 is_stmt 1               ; fp8_utils_aot.py:76:18
	v_lshl_add_u64 v[0:1], s[4:5], 0, v[152:153]
	.loc	1 67 20                         ; fp8_utils_aot.py:67:20
	global_load_ubyte a108, v[0:1], off
	.loc	1 67 51 is_stmt 0               ; fp8_utils_aot.py:67:51
	s_cmp_ge_i32 s83, s6
	.loc	1 67 20                         ; fp8_utils_aot.py:67:20
	s_cbranch_scc1 .LBB0_387
.LBB0_452:                              ;   in Loop: Header=BB0_263 Depth=1
	.loc	1 76 18 is_stmt 1               ; fp8_utils_aot.py:76:18
	v_lshl_add_u64 v[0:1], s[4:5], 0, v[154:155]
	.loc	1 67 20                         ; fp8_utils_aot.py:67:20
	global_load_ubyte a109, v[0:1], off
	.loc	1 67 51 is_stmt 0               ; fp8_utils_aot.py:67:51
	s_cmp_ge_i32 s86, s6
	.loc	1 67 20                         ; fp8_utils_aot.py:67:20
	s_cbranch_scc1 .LBB0_388
.LBB0_453:                              ;   in Loop: Header=BB0_263 Depth=1
	.loc	1 76 18 is_stmt 1               ; fp8_utils_aot.py:76:18
	v_lshl_add_u64 v[0:1], s[4:5], 0, v[156:157]
	.loc	1 67 20                         ; fp8_utils_aot.py:67:20
	global_load_ubyte a110, v[0:1], off
	.loc	1 67 51 is_stmt 0               ; fp8_utils_aot.py:67:51
	s_cmp_ge_i32 s92, s6
	.loc	1 67 20                         ; fp8_utils_aot.py:67:20
	s_cbranch_scc0 .LBB0_261
.LBB0_454:                              ;   in Loop: Header=BB0_263 Depth=1
	.loc	1 0 20                          ; fp8_utils_aot.py:0:20
	v_accvgpr_write_b32 a111, 0
	.loc	1 67 20                         ; fp8_utils_aot.py:67:20
	s_branch .LBB0_262
.LBB0_455:                              ; %Flow
	.loc	1 0 20                          ; fp8_utils_aot.py:0:20
	v_accvgpr_read_b32 v242, a150
	v_accvgpr_read_b32 v243, a151
	;; [unrolled: 1-line block ×3, first 2 shown]
.LBB0_456:                              ; %Flow1030
	s_load_dwordx2 s[38:39], s[0:1], 0x4c
	.loc	1 70 29 is_stmt 1               ; fp8_utils_aot.py:70:29
	s_abs_i32 s1, s15
	s_mul_i32 s2, s1, s25
	s_mul_hi_u32 s3, s1, s24
	.loc	1 66 20                         ; fp8_utils_aot.py:66:20
	v_add_u32_e32 v0, 0, v93
	.loc	1 70 29                         ; fp8_utils_aot.py:70:29
	s_add_i32 s2, s3, s2
	.loc	1 66 20                         ; fp8_utils_aot.py:66:20
	s_waitcnt lgkmcnt(0)
	s_barrier
	ds_read_b128 v[16:19], v0 offset:16384
	ds_read_b128 v[52:55], v0 offset:20480
	v_add_u32_e32 v0, 0, v94
	.loc	1 70 29                         ; fp8_utils_aot.py:70:29
	s_mul_i32 s3, s2, s40
	.loc	1 66 20                         ; fp8_utils_aot.py:66:20
	ds_read_b128 v[20:23], v0 offset:16384
	ds_read_b128 v[56:59], v0 offset:20480
	v_add_u32_e32 v0, 0, v96
	.loc	1 70 29                         ; fp8_utils_aot.py:70:29
	s_ashr_i32 s0, s15, 31
	s_sub_i32 s1, s1, s3
	.loc	1 66 20                         ; fp8_utils_aot.py:66:20
	ds_read_b128 v[24:27], v0 offset:16384
	ds_read_b128 v[60:63], v0 offset:20480
	v_add_u32_e32 v0, 0, v97
	.loc	1 70 29                         ; fp8_utils_aot.py:70:29
	s_xor_b32 s0, s0, s97
	s_add_i32 s3, s2, 1
	s_sub_i32 s4, s1, s40
	.loc	1 66 20                         ; fp8_utils_aot.py:66:20
	ds_read_b128 v[28:31], v0 offset:16384
	.loc	1 67 20                         ; fp8_utils_aot.py:67:20
	ds_read_b128 v[64:67], v0 offset:20480
	v_add_u32_e32 v0, 0, v102
	.loc	1 70 29                         ; fp8_utils_aot.py:70:29
	s_cmp_ge_u32 s1, s40
	.loc	1 67 20                         ; fp8_utils_aot.py:67:20
	ds_read_b64_tr_b8 v[68:69], v0
	ds_read_b64_tr_b8 v[72:73], v0 offset:4096
	ds_read_b64_tr_b8 v[76:77], v0 offset:8192
	;; [unrolled: 1-line block ×3, first 2 shown]
	v_add_u32_e32 v0, 0, v46
	.loc	1 70 29                         ; fp8_utils_aot.py:70:29
	s_cselect_b32 s2, s3, s2
	.loc	1 67 20                         ; fp8_utils_aot.py:67:20
	ds_read_b64_tr_b8 v[70:71], v0
	ds_read_b64_tr_b8 v[74:75], v0 offset:4096
	ds_read_b64_tr_b8 v[78:79], v0 offset:8192
	;; [unrolled: 1-line block ×3, first 2 shown]
	.loc	1 70 29                         ; fp8_utils_aot.py:70:29
	s_cselect_b32 s1, s4, s1
	s_add_i32 s3, s2, 1
	s_cmp_ge_u32 s1, s40
	s_cselect_b32 s1, s3, s2
	s_xor_b32 s1, s1, s0
	s_sub_i32 s4, s1, s0
	.loc	1 71 42                         ; fp8_utils_aot.py:71:42
	s_mul_i32 s2, s4, s20
	.loc	1 71 22 is_stmt 0               ; fp8_utils_aot.py:71:22
	v_cndmask_b32_e64 v0, 0, 1, s[16:17]
	v_cmp_ne_u32_e64 s[0:1], 1, v0
	s_andn2_b64 vcc, exec, s[16:17]
	.loc	1 71 32                         ; fp8_utils_aot.py:71:32
	s_ashr_i32 s3, s2, 31
	v_readlane_b32 s12, v255, 3
	v_readlane_b32 s5, v255, 32
	.loc	1 71 22                         ; fp8_utils_aot.py:71:22
	s_cbranch_vccnz .LBB0_458
; %bb.457:
	.loc	1 0 22                          ; fp8_utils_aot.py:0:22
	v_lshl_add_u64 v[0:1], s[2:3], 2, v[226:227]
	.loc	1 71 22                         ; fp8_utils_aot.py:71:22
	global_load_dword v34, v[0:1], off
	s_branch .LBB0_459
.LBB0_458:
	.loc	1 0 22                          ; fp8_utils_aot.py:0:22
	v_mov_b32_e32 v34, 0
.LBB0_459:
	v_readlane_b32 s40, v255, 0
	s_waitcnt vmcnt(0)
	v_mov_b32_e32 v35, v34
	v_readlane_b32 s41, v255, 1
	.loc	1 71 22 is_stmt 1               ; fp8_utils_aot.py:71:22
	s_and_b64 vcc, exec, s[0:1]
	s_cbranch_vccnz .LBB0_461
; %bb.460:
	.loc	1 71 32 is_stmt 0               ; fp8_utils_aot.py:71:32
	v_lshl_add_u64 v[0:1], s[2:3], 2, v[224:225]
	.loc	1 71 22                         ; fp8_utils_aot.py:71:22
	global_load_dword v36, v[0:1], off
	s_branch .LBB0_462
.LBB0_461:
	.loc	1 0 22                          ; fp8_utils_aot.py:0:22
	v_mov_b32_e32 v36, 0
.LBB0_462:
	.loc	1 72 42 is_stmt 1               ; fp8_utils_aot.py:72:42
	s_mul_i32 s2, s4, s21
	s_waitcnt vmcnt(0)
	v_mov_b32_e32 v37, v36
	.loc	1 72 22 is_stmt 0               ; fp8_utils_aot.py:72:22
	s_and_b64 vcc, exec, s[0:1]
	.loc	1 72 32                         ; fp8_utils_aot.py:72:32
	s_ashr_i32 s3, s2, 31
	.loc	1 72 22                         ; fp8_utils_aot.py:72:22
	s_cbranch_vccnz .LBB0_480
; %bb.463:
	.loc	1 0 22                          ; fp8_utils_aot.py:0:22
	v_lshl_add_u64 v[0:1], s[2:3], 2, v[222:223]
	.loc	1 72 22                         ; fp8_utils_aot.py:72:22
	global_load_dword v32, v[0:1], off
	s_and_b64 vcc, exec, s[0:1]
	s_cbranch_vccz .LBB0_481
.LBB0_464:
	.loc	1 0 22                          ; fp8_utils_aot.py:0:22
	v_mov_b32_e32 v33, 0
	.loc	1 72 22                         ; fp8_utils_aot.py:72:22
	s_and_b64 vcc, exec, s[0:1]
	s_cbranch_vccz .LBB0_482
.LBB0_465:
	.loc	1 0 22                          ; fp8_utils_aot.py:0:22
	v_mov_b32_e32 v38, 0
	v_accvgpr_read_b32 v84, a184
	.loc	1 72 22                         ; fp8_utils_aot.py:72:22
	s_and_b64 vcc, exec, s[0:1]
	s_cbranch_vccz .LBB0_483
.LBB0_466:
	.loc	1 0 22                          ; fp8_utils_aot.py:0:22
	v_mov_b32_e32 v39, 0
	.loc	1 72 22                         ; fp8_utils_aot.py:72:22
	s_and_b64 vcc, exec, s[0:1]
	s_cbranch_vccz .LBB0_484
.LBB0_467:
	.loc	1 0 22                          ; fp8_utils_aot.py:0:22
	v_mov_b32_e32 v40, 0
	.loc	1 72 22                         ; fp8_utils_aot.py:72:22
	s_and_b64 vcc, exec, s[0:1]
	s_cbranch_vccz .LBB0_485
.LBB0_468:
	.loc	1 0 22                          ; fp8_utils_aot.py:0:22
	v_mov_b32_e32 v41, 0
	.loc	1 72 22                         ; fp8_utils_aot.py:72:22
	s_and_b64 vcc, exec, s[0:1]
	s_cbranch_vccz .LBB0_486
.LBB0_469:
	.loc	1 0 22                          ; fp8_utils_aot.py:0:22
	v_mov_b32_e32 v42, 0
	.loc	1 72 22                         ; fp8_utils_aot.py:72:22
	s_and_b64 vcc, exec, s[0:1]
	s_cbranch_vccz .LBB0_487
.LBB0_470:
	.loc	1 0 22                          ; fp8_utils_aot.py:0:22
	v_mov_b32_e32 v43, 0
	.loc	1 72 22                         ; fp8_utils_aot.py:72:22
	s_and_b64 vcc, exec, s[0:1]
	s_cbranch_vccz .LBB0_488
.LBB0_471:
	.loc	1 0 22                          ; fp8_utils_aot.py:0:22
	v_mov_b32_e32 v44, 0
	.loc	1 72 22                         ; fp8_utils_aot.py:72:22
	s_and_b64 vcc, exec, s[0:1]
	s_cbranch_vccz .LBB0_489
.LBB0_472:
	.loc	1 0 22                          ; fp8_utils_aot.py:0:22
	v_mov_b32_e32 v45, 0
	.loc	1 72 22                         ; fp8_utils_aot.py:72:22
	s_and_b64 vcc, exec, s[0:1]
	s_cbranch_vccz .LBB0_490
.LBB0_473:
	.loc	1 0 22                          ; fp8_utils_aot.py:0:22
	v_mov_b32_e32 v46, 0
	.loc	1 72 22                         ; fp8_utils_aot.py:72:22
	s_and_b64 vcc, exec, s[0:1]
	s_cbranch_vccz .LBB0_491
.LBB0_474:
	.loc	1 0 22                          ; fp8_utils_aot.py:0:22
	v_mov_b32_e32 v47, 0
	.loc	1 72 22                         ; fp8_utils_aot.py:72:22
	s_and_b64 vcc, exec, s[0:1]
	s_cbranch_vccz .LBB0_492
.LBB0_475:
	.loc	1 0 22                          ; fp8_utils_aot.py:0:22
	v_mov_b32_e32 v48, 0
	.loc	1 72 22                         ; fp8_utils_aot.py:72:22
	s_and_b64 vcc, exec, s[0:1]
	s_cbranch_vccz .LBB0_493
.LBB0_476:
	.loc	1 0 22                          ; fp8_utils_aot.py:0:22
	v_mov_b32_e32 v49, 0
	.loc	1 72 22                         ; fp8_utils_aot.py:72:22
	s_and_b64 vcc, exec, s[0:1]
	s_cbranch_vccz .LBB0_494
.LBB0_477:
	.loc	1 0 22                          ; fp8_utils_aot.py:0:22
	v_mov_b32_e32 v50, 0
	.loc	1 72 22                         ; fp8_utils_aot.py:72:22
	s_and_b64 vcc, exec, s[0:1]
	s_cbranch_vccz .LBB0_495
.LBB0_478:
	.loc	1 0 22                          ; fp8_utils_aot.py:0:22
	v_mov_b32_e32 v51, 0
	.loc	1 74 33 is_stmt 1               ; fp8_utils_aot.py:74:33
	s_and_b64 vcc, exec, s[0:1]
	s_cbranch_vccz .LBB0_496
.LBB0_479:
	.loc	1 0 33 is_stmt 0                ; fp8_utils_aot.py:0:33
	v_mov_b32_e32 v0, 0
	v_mov_b32_e32 v1, v0
	v_mov_b32_e32 v2, v0
	v_mov_b32_e32 v3, v0
	v_mov_b32_e32 v4, v0
	v_mov_b32_e32 v5, v0
	v_mov_b32_e32 v6, v0
	v_mov_b32_e32 v7, v0
	v_mov_b32_e32 v8, v0
	v_mov_b32_e32 v9, v0
	v_mov_b32_e32 v10, v0
	v_mov_b32_e32 v11, v0
	v_mov_b32_e32 v12, v0
	v_mov_b32_e32 v13, v0
	v_mov_b32_e32 v14, v0
	v_mov_b32_e32 v15, v0
	s_waitcnt lgkmcnt(14)
	v_mov_b32_e32 v16, v0
	v_mov_b32_e32 v17, v0
	v_mov_b32_e32 v18, v0
	v_mov_b32_e32 v19, v0
	s_waitcnt lgkmcnt(13)
	v_mov_b32_e32 v20, v0
	v_mov_b32_e32 v21, v0
	v_mov_b32_e32 v22, v0
	v_mov_b32_e32 v23, v0
	s_waitcnt lgkmcnt(11)
	v_mov_b32_e32 v24, v0
	v_mov_b32_e32 v25, v0
	v_mov_b32_e32 v26, v0
	v_mov_b32_e32 v27, v0
	s_waitcnt lgkmcnt(9)
	v_mov_b32_e32 v28, v0
	v_mov_b32_e32 v29, v0
	v_mov_b32_e32 v30, v0
	v_mov_b32_e32 v31, v0
	.loc	1 74 33                         ; fp8_utils_aot.py:74:33
	s_branch .LBB0_497
.LBB0_480:
	.loc	1 0 33                          ; fp8_utils_aot.py:0:33
	v_mov_b32_e32 v32, 0
	.loc	1 72 22 is_stmt 1               ; fp8_utils_aot.py:72:22
	s_and_b64 vcc, exec, s[0:1]
	s_cbranch_vccnz .LBB0_464
.LBB0_481:
	.loc	1 72 32 is_stmt 0               ; fp8_utils_aot.py:72:32
	v_lshl_add_u64 v[0:1], s[2:3], 2, v[220:221]
	.loc	1 72 22                         ; fp8_utils_aot.py:72:22
	global_load_dword v33, v[0:1], off
	s_and_b64 vcc, exec, s[0:1]
	s_cbranch_vccnz .LBB0_465
.LBB0_482:
	.loc	1 72 32                         ; fp8_utils_aot.py:72:32
	v_lshl_add_u64 v[0:1], s[2:3], 2, v[218:219]
	.loc	1 72 22                         ; fp8_utils_aot.py:72:22
	global_load_dword v38, v[0:1], off
	v_accvgpr_read_b32 v84, a184
	s_and_b64 vcc, exec, s[0:1]
	s_cbranch_vccnz .LBB0_466
.LBB0_483:
	.loc	1 72 32                         ; fp8_utils_aot.py:72:32
	v_lshl_add_u64 v[0:1], s[2:3], 2, v[216:217]
	.loc	1 72 22                         ; fp8_utils_aot.py:72:22
	global_load_dword v39, v[0:1], off
	s_and_b64 vcc, exec, s[0:1]
	s_cbranch_vccnz .LBB0_467
.LBB0_484:
	.loc	1 72 32                         ; fp8_utils_aot.py:72:32
	v_lshl_add_u64 v[0:1], s[2:3], 2, v[214:215]
	.loc	1 72 22                         ; fp8_utils_aot.py:72:22
	global_load_dword v40, v[0:1], off
	s_and_b64 vcc, exec, s[0:1]
	s_cbranch_vccnz .LBB0_468
.LBB0_485:
	.loc	1 72 32                         ; fp8_utils_aot.py:72:32
	v_lshl_add_u64 v[0:1], s[2:3], 2, v[212:213]
	.loc	1 72 22                         ; fp8_utils_aot.py:72:22
	global_load_dword v41, v[0:1], off
	s_and_b64 vcc, exec, s[0:1]
	s_cbranch_vccnz .LBB0_469
.LBB0_486:
	.loc	1 72 32                         ; fp8_utils_aot.py:72:32
	v_lshl_add_u64 v[0:1], s[2:3], 2, v[210:211]
	.loc	1 72 22                         ; fp8_utils_aot.py:72:22
	global_load_dword v42, v[0:1], off
	s_and_b64 vcc, exec, s[0:1]
	s_cbranch_vccnz .LBB0_470
.LBB0_487:
	.loc	1 72 32                         ; fp8_utils_aot.py:72:32
	v_lshl_add_u64 v[0:1], s[2:3], 2, v[208:209]
	.loc	1 72 22                         ; fp8_utils_aot.py:72:22
	global_load_dword v43, v[0:1], off
	s_and_b64 vcc, exec, s[0:1]
	s_cbranch_vccnz .LBB0_471
.LBB0_488:
	.loc	1 72 32                         ; fp8_utils_aot.py:72:32
	v_lshl_add_u64 v[0:1], s[2:3], 2, v[206:207]
	.loc	1 72 22                         ; fp8_utils_aot.py:72:22
	global_load_dword v44, v[0:1], off
	s_and_b64 vcc, exec, s[0:1]
	s_cbranch_vccnz .LBB0_472
.LBB0_489:
	.loc	1 72 32                         ; fp8_utils_aot.py:72:32
	v_lshl_add_u64 v[0:1], s[2:3], 2, v[204:205]
	.loc	1 72 22                         ; fp8_utils_aot.py:72:22
	global_load_dword v45, v[0:1], off
	s_and_b64 vcc, exec, s[0:1]
	s_cbranch_vccnz .LBB0_473
.LBB0_490:
	.loc	1 72 32                         ; fp8_utils_aot.py:72:32
	v_lshl_add_u64 v[0:1], s[2:3], 2, v[202:203]
	.loc	1 72 22                         ; fp8_utils_aot.py:72:22
	global_load_dword v46, v[0:1], off
	s_and_b64 vcc, exec, s[0:1]
	s_cbranch_vccnz .LBB0_474
.LBB0_491:
	.loc	1 72 32                         ; fp8_utils_aot.py:72:32
	v_lshl_add_u64 v[0:1], s[2:3], 2, v[200:201]
	.loc	1 72 22                         ; fp8_utils_aot.py:72:22
	global_load_dword v47, v[0:1], off
	s_and_b64 vcc, exec, s[0:1]
	s_cbranch_vccnz .LBB0_475
.LBB0_492:
	.loc	1 72 32                         ; fp8_utils_aot.py:72:32
	v_lshl_add_u64 v[0:1], s[2:3], 2, v[198:199]
	.loc	1 72 22                         ; fp8_utils_aot.py:72:22
	global_load_dword v48, v[0:1], off
	s_and_b64 vcc, exec, s[0:1]
	s_cbranch_vccnz .LBB0_476
.LBB0_493:
	.loc	1 72 32                         ; fp8_utils_aot.py:72:32
	v_lshl_add_u64 v[0:1], s[2:3], 2, v[196:197]
	.loc	1 72 22                         ; fp8_utils_aot.py:72:22
	global_load_dword v49, v[0:1], off
	s_and_b64 vcc, exec, s[0:1]
	s_cbranch_vccnz .LBB0_477
.LBB0_494:
	.loc	1 72 32                         ; fp8_utils_aot.py:72:32
	v_lshl_add_u64 v[0:1], s[2:3], 2, v[194:195]
	.loc	1 72 22                         ; fp8_utils_aot.py:72:22
	global_load_dword v50, v[0:1], off
	s_and_b64 vcc, exec, s[0:1]
	s_cbranch_vccnz .LBB0_478
.LBB0_495:
	.loc	1 72 32                         ; fp8_utils_aot.py:72:32
	v_lshl_add_u64 v[0:1], s[2:3], 2, v[192:193]
	.loc	1 72 22                         ; fp8_utils_aot.py:72:22
	global_load_dword v51, v[0:1], off
	.loc	1 74 33 is_stmt 1               ; fp8_utils_aot.py:74:33
	s_and_b64 vcc, exec, s[0:1]
	s_cbranch_vccnz .LBB0_479
.LBB0_496:
	s_waitcnt lgkmcnt(2)
	v_mfma_f32_32x32x64_f8f6f4 v[0:15], v[68:75], v[16:23], 0
	s_waitcnt lgkmcnt(0)
	v_mfma_f32_32x32x64_f8f6f4 v[0:15], v[76:83], v[24:31], v[0:15]
	v_mfma_f32_32x32x64_f8f6f4 v[16:31], v[68:75], v[52:59], 0
	;; [unrolled: 1-line block ×3, first 2 shown]
.LBB0_497:
	.loc	1 74 38 is_stmt 0               ; fp8_utils_aot.py:74:38
	s_nop 15
	s_nop 1
	v_pk_mul_f32 v[0:1], v[34:35], v[0:1]
	v_pk_mul_f32 v[2:3], v[34:35], v[2:3]
	.loc	1 74 23                         ; fp8_utils_aot.py:74:23
	s_waitcnt vmcnt(0)
	v_pk_fma_f32 v[0:1], v[32:33], v[0:1], v[188:189]
	.loc	1 74 38                         ; fp8_utils_aot.py:74:38
	v_pk_mul_f32 v[4:5], v[34:35], v[4:5]
	v_pk_mul_f32 v[6:7], v[34:35], v[6:7]
	;; [unrolled: 1-line block ×6, first 2 shown]
	.loc	1 65 22 is_stmt 1               ; fp8_utils_aot.py:65:22
	v_cndmask_b32_e64 v34, v189, v1, s[16:17]
	v_cndmask_b32_e64 v35, v188, v0, s[16:17]
	.loc	1 74 23                         ; fp8_utils_aot.py:74:23
	v_pk_fma_f32 v[0:1], v[38:39], v[2:3], v[190:191]
	.loc	1 74 38 is_stmt 0               ; fp8_utils_aot.py:74:38
	v_pk_mul_f32 v[16:17], v[36:37], v[16:17]
	.loc	1 65 22 is_stmt 1               ; fp8_utils_aot.py:65:22
	v_cndmask_b32_e64 v2, v191, v1, s[16:17]
	v_cndmask_b32_e64 v3, v190, v0, s[16:17]
	.loc	1 74 23                         ; fp8_utils_aot.py:74:23
	v_pk_fma_f32 v[0:1], v[40:41], v[4:5], v[186:187]
	.loc	1 74 38 is_stmt 0               ; fp8_utils_aot.py:74:38
	v_pk_mul_f32 v[18:19], v[36:37], v[18:19]
	;; [unrolled: 7-line block ×3, first 2 shown]
	v_pk_mul_f32 v[22:23], v[36:37], v[22:23]
	v_pk_mul_f32 v[24:25], v[36:37], v[24:25]
	;; [unrolled: 1-line block ×5, first 2 shown]
	.loc	1 65 22 is_stmt 1               ; fp8_utils_aot.py:65:22
	v_cndmask_b32_e64 v7, v185, v1, s[16:17]
	v_cndmask_b32_e64 v36, v184, v0, s[16:17]
	.loc	1 74 23                         ; fp8_utils_aot.py:74:23
	v_pk_fma_f32 v[0:1], v[44:45], v[8:9], v[182:183]
	.loc	1 55 51                         ; fp8_utils_aot.py:55:51
	v_lshrrev_b32_e32 v52, 2, v84
	.loc	1 65 22                         ; fp8_utils_aot.py:65:22
	v_cndmask_b32_e64 v8, v183, v1, s[16:17]
	v_cndmask_b32_e64 v9, v182, v0, s[16:17]
	.loc	1 74 23                         ; fp8_utils_aot.py:74:23
	v_pk_fma_f32 v[0:1], v[46:47], v[10:11], v[180:181]
	.loc	1 55 51                         ; fp8_utils_aot.py:55:51
	v_readlane_b32 s0, v255, 29
	.loc	1 65 22                         ; fp8_utils_aot.py:65:22
	v_cndmask_b32_e64 v11, v181, v1, s[16:17]
	v_cndmask_b32_e64 v37, v180, v0, s[16:17]
	.loc	1 74 23                         ; fp8_utils_aot.py:74:23
	v_pk_fma_f32 v[0:1], v[48:49], v[12:13], v[178:179]
	.loc	1 55 51                         ; fp8_utils_aot.py:55:51
	v_or_b32_e32 v52, s0, v52
	.loc	1 65 22                         ; fp8_utils_aot.py:65:22
	v_cndmask_b32_e64 v12, v179, v1, s[16:17]
	v_cndmask_b32_e64 v13, v178, v0, s[16:17]
	.loc	1 74 23                         ; fp8_utils_aot.py:74:23
	v_pk_fma_f32 v[0:1], v[50:51], v[14:15], v[176:177]
	.loc	1 79 27                         ; fp8_utils_aot.py:79:27
	v_cvt_pk_bf16_f32 v6, v35, v34
	.loc	1 65 22                         ; fp8_utils_aot.py:65:22
	v_cndmask_b32_e64 v15, v177, v1, s[16:17]
	v_cndmask_b32_e64 v53, v176, v0, s[16:17]
	.loc	1 74 23                         ; fp8_utils_aot.py:74:23
	v_pk_fma_f32 v[0:1], v[32:33], v[16:17], v[174:175]
	.loc	1 55 38                         ; fp8_utils_aot.py:55:38
	v_or_b32_e32 v52, s5, v52
	.loc	1 65 22                         ; fp8_utils_aot.py:65:22
	v_cndmask_b32_e64 v16, v175, v1, s[16:17]
	v_cndmask_b32_e64 v17, v174, v0, s[16:17]
	.loc	1 74 23                         ; fp8_utils_aot.py:74:23
	v_pk_fma_f32 v[0:1], v[38:39], v[18:19], v[172:173]
	.loc	1 79 27                         ; fp8_utils_aot.py:79:27
	v_cvt_pk_bf16_f32 v10, v3, v2
	.loc	1 65 22                         ; fp8_utils_aot.py:65:22
	v_cndmask_b32_e64 v19, v173, v1, s[16:17]
	v_cndmask_b32_e64 v32, v172, v0, s[16:17]
	.loc	1 74 23                         ; fp8_utils_aot.py:74:23
	v_pk_fma_f32 v[0:1], v[40:41], v[20:21], v[170:171]
	.loc	1 79 27                         ; fp8_utils_aot.py:79:27
	v_cvt_pk_bf16_f32 v14, v5, v4
	;; [unrolled: 7-line block ×7, first 2 shown]
	.loc	1 65 22                         ; fp8_utils_aot.py:65:22
	v_cndmask_b32_e64 v1, v161, v1, s[16:17]
	v_cndmask_b32_e64 v0, v160, v0, s[16:17]
	.loc	1 79 27                         ; fp8_utils_aot.py:79:27
	v_cvt_pk_bf16_f32 v34, v0, v1
	.loc	1 87 29                         ; fp8_utils_aot.py:87:29
	v_mul_lo_u32 v0, v243, s38
	.loc	1 87 17 is_stmt 0               ; fp8_utils_aot.py:87:17
	v_ashrrev_i32_e32 v1, 31, v0
	.loc	1 79 27 is_stmt 1               ; fp8_utils_aot.py:79:27
	v_cvt_pk_bf16_f32 v41, v17, v16
	v_cvt_pk_bf16_f32 v40, v32, v19
	;; [unrolled: 1-line block ×7, first 2 shown]
	.loc	1 87 17                         ; fp8_utils_aot.py:87:17
	v_lshl_add_u64 v[2:3], v[0:1], 1, s[40:41]
	.loc	1 87 60 is_stmt 0               ; fp8_utils_aot.py:87:60
	v_mul_lo_u32 v0, v52, s39
	.loc	1 88 33 is_stmt 1               ; fp8_utils_aot.py:88:33
	v_cmp_gt_i32_e64 s[0:1], s12, v243
	.loc	1 88 58 is_stmt 0               ; fp8_utils_aot.py:88:58
	v_cmp_gt_i32_e32 vcc, s13, v52
	.loc	1 87 48 is_stmt 1               ; fp8_utils_aot.py:87:48
	v_ashrrev_i32_e32 v1, 31, v0
	.loc	1 88 39                         ; fp8_utils_aot.py:88:39
	s_and_b64 s[4:5], s[0:1], vcc
	.loc	1 79 27                         ; fp8_utils_aot.py:79:27
	v_permlane32_swap_b32_e32 v6, v14
	v_permlane32_swap_b32_e32 v10, v18
	;; [unrolled: 1-line block ×8, first 2 shown]
	.loc	1 89 21                         ; fp8_utils_aot.py:89:21
	s_and_saveexec_b64 s[2:3], s[4:5]
	s_cbranch_execz .LBB0_499
; %bb.498:
	.loc	1 0 21 is_stmt 0                ; fp8_utils_aot.py:0:21
	v_lshl_add_u64 v[4:5], v[0:1], 1, v[2:3]
	.loc	1 89 21                         ; fp8_utils_aot.py:89:21
	global_store_short v[4:5], v6, off
.LBB0_499:
	.loc	1 0 21                          ; fp8_utils_aot.py:0:21
	s_or_b64 exec, exec, s[2:3]
	.loc	1 55 38 is_stmt 1               ; fp8_utils_aot.py:55:38
	v_or_b32_e32 v7, 1, v52
	.loc	1 87 60                         ; fp8_utils_aot.py:87:60
	v_mul_lo_u32 v4, v7, s39
	.loc	1 88 58                         ; fp8_utils_aot.py:88:58
	v_cmp_gt_i32_e64 s[2:3], s13, v7
	.loc	1 87 48                         ; fp8_utils_aot.py:87:48
	v_ashrrev_i32_e32 v5, 31, v4
	.loc	1 88 39                         ; fp8_utils_aot.py:88:39
	s_and_b64 s[6:7], s[0:1], s[2:3]
	.loc	1 89 21                         ; fp8_utils_aot.py:89:21
	s_and_saveexec_b64 s[4:5], s[6:7]
	s_cbranch_execz .LBB0_501
; %bb.500:
	.loc	1 87 48                         ; fp8_utils_aot.py:87:48
	v_lshl_add_u64 v[8:9], v[4:5], 1, v[2:3]
	.loc	1 89 21                         ; fp8_utils_aot.py:89:21
	global_store_short_d16_hi v[8:9], v6, off
.LBB0_501:
	.loc	1 0 21 is_stmt 0                ; fp8_utils_aot.py:0:21
	s_or_b64 exec, exec, s[4:5]
	.loc	1 55 38 is_stmt 1               ; fp8_utils_aot.py:55:38
	v_or_b32_e32 v8, 2, v52
	.loc	1 87 60                         ; fp8_utils_aot.py:87:60
	v_mul_lo_u32 v6, v8, s39
	.loc	1 88 58                         ; fp8_utils_aot.py:88:58
	v_cmp_gt_i32_e64 s[4:5], s13, v8
	.loc	1 87 48                         ; fp8_utils_aot.py:87:48
	v_ashrrev_i32_e32 v7, 31, v6
	.loc	1 88 39                         ; fp8_utils_aot.py:88:39
	s_and_b64 s[6:7], s[0:1], s[4:5]
	.loc	1 89 21                         ; fp8_utils_aot.py:89:21
	s_and_saveexec_b64 s[8:9], s[6:7]
	s_cbranch_execz .LBB0_503
; %bb.502:
	.loc	1 87 48                         ; fp8_utils_aot.py:87:48
	v_lshl_add_u64 v[8:9], v[6:7], 1, v[2:3]
	.loc	1 89 21                         ; fp8_utils_aot.py:89:21
	global_store_short v[8:9], v10, off
.LBB0_503:
	.loc	1 0 21 is_stmt 0                ; fp8_utils_aot.py:0:21
	s_or_b64 exec, exec, s[8:9]
	.loc	1 55 38 is_stmt 1               ; fp8_utils_aot.py:55:38
	v_or_b32_e32 v11, 3, v52
	.loc	1 87 60                         ; fp8_utils_aot.py:87:60
	v_mul_lo_u32 v8, v11, s39
	.loc	1 88 58                         ; fp8_utils_aot.py:88:58
	v_cmp_gt_i32_e64 s[8:9], s13, v11
	.loc	1 87 48                         ; fp8_utils_aot.py:87:48
	v_ashrrev_i32_e32 v9, 31, v8
	.loc	1 88 39                         ; fp8_utils_aot.py:88:39
	s_and_b64 s[6:7], s[0:1], s[8:9]
	.loc	1 89 21                         ; fp8_utils_aot.py:89:21
	s_and_saveexec_b64 s[10:11], s[6:7]
	s_cbranch_execz .LBB0_505
; %bb.504:
	.loc	1 87 48                         ; fp8_utils_aot.py:87:48
	v_lshl_add_u64 v[12:13], v[8:9], 1, v[2:3]
	.loc	1 89 21                         ; fp8_utils_aot.py:89:21
	global_store_short_d16_hi v[12:13], v10, off
.LBB0_505:
	.loc	1 0 21 is_stmt 0                ; fp8_utils_aot.py:0:21
	s_or_b64 exec, exec, s[10:11]
	.loc	1 55 38 is_stmt 1               ; fp8_utils_aot.py:55:38
	v_or_b32_e32 v12, 4, v52
	.loc	1 87 60                         ; fp8_utils_aot.py:87:60
	v_mul_lo_u32 v10, v12, s39
	.loc	1 88 58                         ; fp8_utils_aot.py:88:58
	v_cmp_gt_i32_e64 s[10:11], s13, v12
	.loc	1 87 48                         ; fp8_utils_aot.py:87:48
	v_ashrrev_i32_e32 v11, 31, v10
	.loc	1 88 39                         ; fp8_utils_aot.py:88:39
	s_and_b64 s[6:7], s[0:1], s[10:11]
	.loc	1 89 21                         ; fp8_utils_aot.py:89:21
	s_and_saveexec_b64 s[14:15], s[6:7]
	s_cbranch_execz .LBB0_507
; %bb.506:
	.loc	1 87 48                         ; fp8_utils_aot.py:87:48
	v_lshl_add_u64 v[12:13], v[10:11], 1, v[2:3]
	.loc	1 89 21                         ; fp8_utils_aot.py:89:21
	global_store_short v[12:13], v14, off
.LBB0_507:
	.loc	1 0 21 is_stmt 0                ; fp8_utils_aot.py:0:21
	;; [unrolled: 42-line block ×7, first 2 shown]
	s_or_b64 exec, exec, s[34:35]
	.loc	1 55 38 is_stmt 1               ; fp8_utils_aot.py:55:38
	v_or_b32_e32 v43, 23, v52
	.loc	1 87 60                         ; fp8_utils_aot.py:87:60
	v_mul_lo_u32 v32, v43, s39
	.loc	1 88 58                         ; fp8_utils_aot.py:88:58
	v_cmp_gt_i32_e64 s[34:35], s13, v43
	.loc	1 87 48                         ; fp8_utils_aot.py:87:48
	v_ashrrev_i32_e32 v33, 31, v32
	.loc	1 88 39                         ; fp8_utils_aot.py:88:39
	s_and_b64 s[6:7], s[0:1], s[34:35]
	.loc	1 89 21                         ; fp8_utils_aot.py:89:21
	s_and_saveexec_b64 s[0:1], s[6:7]
	s_cbranch_execz .LBB0_529
; %bb.528:
	.loc	1 87 48                         ; fp8_utils_aot.py:87:48
	v_lshl_add_u64 v[2:3], v[32:33], 1, v[2:3]
	.loc	1 89 21                         ; fp8_utils_aot.py:89:21
	global_store_short_d16_hi v[2:3], v42, off
.LBB0_529:
	.loc	1 0 21 is_stmt 0                ; fp8_utils_aot.py:0:21
	s_or_b64 exec, exec, s[0:1]
	.loc	1 87 29 is_stmt 1               ; fp8_utils_aot.py:87:29
	v_mul_lo_u32 v2, s38, v242
	.loc	1 87 17 is_stmt 0               ; fp8_utils_aot.py:87:17
	v_ashrrev_i32_e32 v3, 31, v2
	.loc	1 88 33 is_stmt 1               ; fp8_utils_aot.py:88:33
	v_cmp_gt_i32_e64 s[0:1], s12, v242
	.loc	1 87 17                         ; fp8_utils_aot.py:87:17
	v_lshl_add_u64 v[2:3], v[2:3], 1, s[40:41]
	.loc	1 88 39                         ; fp8_utils_aot.py:88:39
	s_and_b64 s[12:13], s[0:1], vcc
	.loc	1 89 21                         ; fp8_utils_aot.py:89:21
	s_and_saveexec_b64 s[6:7], s[12:13]
	s_cbranch_execnz .LBB0_546
; %bb.530:
	.loc	1 0 21 is_stmt 0                ; fp8_utils_aot.py:0:21
	s_or_b64 exec, exec, s[6:7]
	.loc	1 88 39 is_stmt 1               ; fp8_utils_aot.py:88:39
	s_and_b64 s[6:7], s[0:1], s[2:3]
	.loc	1 89 21                         ; fp8_utils_aot.py:89:21
	s_and_saveexec_b64 s[2:3], s[6:7]
	s_cbranch_execnz .LBB0_547
.LBB0_531:
	.loc	1 0 21 is_stmt 0                ; fp8_utils_aot.py:0:21
	s_or_b64 exec, exec, s[2:3]
	.loc	1 88 39 is_stmt 1               ; fp8_utils_aot.py:88:39
	s_and_b64 s[4:5], s[0:1], s[4:5]
	.loc	1 89 21                         ; fp8_utils_aot.py:89:21
	s_and_saveexec_b64 s[2:3], s[4:5]
	s_cbranch_execnz .LBB0_548
.LBB0_532:
	.loc	1 0 21 is_stmt 0                ; fp8_utils_aot.py:0:21
	s_or_b64 exec, exec, s[2:3]
	.loc	1 88 39 is_stmt 1               ; fp8_utils_aot.py:88:39
	s_and_b64 s[4:5], s[0:1], s[8:9]
	.loc	1 89 21                         ; fp8_utils_aot.py:89:21
	s_and_saveexec_b64 s[2:3], s[4:5]
	s_cbranch_execnz .LBB0_549
.LBB0_533:
	.loc	1 0 21 is_stmt 0                ; fp8_utils_aot.py:0:21
	s_or_b64 exec, exec, s[2:3]
	.loc	1 88 39 is_stmt 1               ; fp8_utils_aot.py:88:39
	s_and_b64 s[4:5], s[0:1], s[10:11]
	.loc	1 89 21                         ; fp8_utils_aot.py:89:21
	s_and_saveexec_b64 s[2:3], s[4:5]
	s_cbranch_execnz .LBB0_550
.LBB0_534:
	.loc	1 0 21 is_stmt 0                ; fp8_utils_aot.py:0:21
	s_or_b64 exec, exec, s[2:3]
	.loc	1 88 39 is_stmt 1               ; fp8_utils_aot.py:88:39
	s_and_b64 s[4:5], s[0:1], s[36:37]
	.loc	1 89 21                         ; fp8_utils_aot.py:89:21
	s_and_saveexec_b64 s[2:3], s[4:5]
	s_cbranch_execnz .LBB0_551
.LBB0_535:
	.loc	1 0 21 is_stmt 0                ; fp8_utils_aot.py:0:21
	s_or_b64 exec, exec, s[2:3]
	.loc	1 88 39 is_stmt 1               ; fp8_utils_aot.py:88:39
	s_and_b64 s[4:5], s[0:1], s[14:15]
	.loc	1 89 21                         ; fp8_utils_aot.py:89:21
	s_and_saveexec_b64 s[2:3], s[4:5]
	s_cbranch_execnz .LBB0_552
.LBB0_536:
	.loc	1 0 21 is_stmt 0                ; fp8_utils_aot.py:0:21
	s_or_b64 exec, exec, s[2:3]
	.loc	1 88 39 is_stmt 1               ; fp8_utils_aot.py:88:39
	s_and_b64 s[4:5], s[0:1], s[16:17]
	.loc	1 89 21                         ; fp8_utils_aot.py:89:21
	s_and_saveexec_b64 s[2:3], s[4:5]
	s_cbranch_execnz .LBB0_553
.LBB0_537:
	.loc	1 0 21 is_stmt 0                ; fp8_utils_aot.py:0:21
	s_or_b64 exec, exec, s[2:3]
	.loc	1 88 39 is_stmt 1               ; fp8_utils_aot.py:88:39
	s_and_b64 s[4:5], s[0:1], s[18:19]
	.loc	1 89 21                         ; fp8_utils_aot.py:89:21
	s_and_saveexec_b64 s[2:3], s[4:5]
	s_cbranch_execnz .LBB0_554
.LBB0_538:
	.loc	1 0 21 is_stmt 0                ; fp8_utils_aot.py:0:21
	s_or_b64 exec, exec, s[2:3]
	.loc	1 88 39 is_stmt 1               ; fp8_utils_aot.py:88:39
	s_and_b64 s[4:5], s[0:1], s[20:21]
	.loc	1 89 21                         ; fp8_utils_aot.py:89:21
	s_and_saveexec_b64 s[2:3], s[4:5]
	s_cbranch_execnz .LBB0_555
.LBB0_539:
	.loc	1 0 21 is_stmt 0                ; fp8_utils_aot.py:0:21
	s_or_b64 exec, exec, s[2:3]
	.loc	1 88 39 is_stmt 1               ; fp8_utils_aot.py:88:39
	s_and_b64 s[4:5], s[0:1], s[22:23]
	.loc	1 89 21                         ; fp8_utils_aot.py:89:21
	s_and_saveexec_b64 s[2:3], s[4:5]
	s_cbranch_execnz .LBB0_556
.LBB0_540:
	.loc	1 0 21 is_stmt 0                ; fp8_utils_aot.py:0:21
	s_or_b64 exec, exec, s[2:3]
	.loc	1 88 39 is_stmt 1               ; fp8_utils_aot.py:88:39
	s_and_b64 s[4:5], s[0:1], s[24:25]
	.loc	1 89 21                         ; fp8_utils_aot.py:89:21
	s_and_saveexec_b64 s[2:3], s[4:5]
	s_cbranch_execnz .LBB0_557
.LBB0_541:
	.loc	1 0 21 is_stmt 0                ; fp8_utils_aot.py:0:21
	s_or_b64 exec, exec, s[2:3]
	.loc	1 88 39 is_stmt 1               ; fp8_utils_aot.py:88:39
	s_and_b64 s[4:5], s[0:1], s[26:27]
	.loc	1 89 21                         ; fp8_utils_aot.py:89:21
	s_and_saveexec_b64 s[2:3], s[4:5]
	s_cbranch_execnz .LBB0_558
.LBB0_542:
	.loc	1 0 21 is_stmt 0                ; fp8_utils_aot.py:0:21
	s_or_b64 exec, exec, s[2:3]
	.loc	1 88 39 is_stmt 1               ; fp8_utils_aot.py:88:39
	s_and_b64 s[4:5], s[0:1], s[28:29]
	.loc	1 89 21                         ; fp8_utils_aot.py:89:21
	s_and_saveexec_b64 s[2:3], s[4:5]
	s_cbranch_execnz .LBB0_559
.LBB0_543:
	.loc	1 0 21 is_stmt 0                ; fp8_utils_aot.py:0:21
	s_or_b64 exec, exec, s[2:3]
	.loc	1 88 39 is_stmt 1               ; fp8_utils_aot.py:88:39
	s_and_b64 s[4:5], s[0:1], s[30:31]
	.loc	1 89 21                         ; fp8_utils_aot.py:89:21
	s_and_saveexec_b64 s[2:3], s[4:5]
	s_cbranch_execnz .LBB0_560
.LBB0_544:
	.loc	1 0 21 is_stmt 0                ; fp8_utils_aot.py:0:21
	s_or_b64 exec, exec, s[2:3]
	.loc	1 88 39 is_stmt 1               ; fp8_utils_aot.py:88:39
	s_and_b64 s[0:1], s[0:1], s[34:35]
	.loc	1 89 21                         ; fp8_utils_aot.py:89:21
	s_and_saveexec_b64 s[2:3], s[0:1]
	s_cbranch_execnz .LBB0_561
.LBB0_545:
	.loc	1 89 4 is_stmt 0                ; fp8_utils_aot.py:89:4
	s_endpgm
.LBB0_546:
	.loc	1 87 48 is_stmt 1               ; fp8_utils_aot.py:87:48
	v_lshl_add_u64 v[0:1], v[0:1], 1, v[2:3]
	.loc	1 89 21                         ; fp8_utils_aot.py:89:21
	global_store_short v[0:1], v41, off
	s_or_b64 exec, exec, s[6:7]
	.loc	1 88 39                         ; fp8_utils_aot.py:88:39
	s_and_b64 s[6:7], s[0:1], s[2:3]
	.loc	1 89 21                         ; fp8_utils_aot.py:89:21
	s_and_saveexec_b64 s[2:3], s[6:7]
	s_cbranch_execz .LBB0_531
.LBB0_547:
	.loc	1 87 48                         ; fp8_utils_aot.py:87:48
	v_lshl_add_u64 v[0:1], v[4:5], 1, v[2:3]
	.loc	1 89 21                         ; fp8_utils_aot.py:89:21
	global_store_short_d16_hi v[0:1], v41, off
	s_or_b64 exec, exec, s[2:3]
	.loc	1 88 39                         ; fp8_utils_aot.py:88:39
	s_and_b64 s[4:5], s[0:1], s[4:5]
	.loc	1 89 21                         ; fp8_utils_aot.py:89:21
	s_and_saveexec_b64 s[2:3], s[4:5]
	s_cbranch_execz .LBB0_532
.LBB0_548:
	.loc	1 87 48                         ; fp8_utils_aot.py:87:48
	v_lshl_add_u64 v[0:1], v[6:7], 1, v[2:3]
	.loc	1 89 21                         ; fp8_utils_aot.py:89:21
	global_store_short v[0:1], v40, off
	s_or_b64 exec, exec, s[2:3]
	.loc	1 88 39                         ; fp8_utils_aot.py:88:39
	s_and_b64 s[4:5], s[0:1], s[8:9]
	.loc	1 89 21                         ; fp8_utils_aot.py:89:21
	s_and_saveexec_b64 s[2:3], s[4:5]
	s_cbranch_execz .LBB0_533
.LBB0_549:
	.loc	1 87 48                         ; fp8_utils_aot.py:87:48
	v_lshl_add_u64 v[0:1], v[8:9], 1, v[2:3]
	.loc	1 89 21                         ; fp8_utils_aot.py:89:21
	global_store_short_d16_hi v[0:1], v40, off
	s_or_b64 exec, exec, s[2:3]
	.loc	1 88 39                         ; fp8_utils_aot.py:88:39
	s_and_b64 s[4:5], s[0:1], s[10:11]
	.loc	1 89 21                         ; fp8_utils_aot.py:89:21
	s_and_saveexec_b64 s[2:3], s[4:5]
	s_cbranch_execz .LBB0_534
.LBB0_550:
	.loc	1 87 48                         ; fp8_utils_aot.py:87:48
	v_lshl_add_u64 v[0:1], v[10:11], 1, v[2:3]
	.loc	1 89 21                         ; fp8_utils_aot.py:89:21
	global_store_short v[0:1], v39, off
	s_or_b64 exec, exec, s[2:3]
	.loc	1 88 39                         ; fp8_utils_aot.py:88:39
	s_and_b64 s[4:5], s[0:1], s[36:37]
	.loc	1 89 21                         ; fp8_utils_aot.py:89:21
	s_and_saveexec_b64 s[2:3], s[4:5]
	s_cbranch_execz .LBB0_535
.LBB0_551:
	.loc	1 87 48                         ; fp8_utils_aot.py:87:48
	v_lshl_add_u64 v[0:1], v[12:13], 1, v[2:3]
	.loc	1 89 21                         ; fp8_utils_aot.py:89:21
	global_store_short_d16_hi v[0:1], v39, off
	s_or_b64 exec, exec, s[2:3]
	.loc	1 88 39                         ; fp8_utils_aot.py:88:39
	s_and_b64 s[4:5], s[0:1], s[14:15]
	.loc	1 89 21                         ; fp8_utils_aot.py:89:21
	s_and_saveexec_b64 s[2:3], s[4:5]
	s_cbranch_execz .LBB0_536
.LBB0_552:
	.loc	1 87 48                         ; fp8_utils_aot.py:87:48
	v_lshl_add_u64 v[0:1], v[14:15], 1, v[2:3]
	.loc	1 89 21                         ; fp8_utils_aot.py:89:21
	global_store_short v[0:1], v38, off
	s_or_b64 exec, exec, s[2:3]
	.loc	1 88 39                         ; fp8_utils_aot.py:88:39
	s_and_b64 s[4:5], s[0:1], s[16:17]
	.loc	1 89 21                         ; fp8_utils_aot.py:89:21
	s_and_saveexec_b64 s[2:3], s[4:5]
	s_cbranch_execz .LBB0_537
.LBB0_553:
	.loc	1 87 48                         ; fp8_utils_aot.py:87:48
	v_lshl_add_u64 v[0:1], v[16:17], 1, v[2:3]
	.loc	1 89 21                         ; fp8_utils_aot.py:89:21
	global_store_short_d16_hi v[0:1], v38, off
	s_or_b64 exec, exec, s[2:3]
	.loc	1 88 39                         ; fp8_utils_aot.py:88:39
	s_and_b64 s[4:5], s[0:1], s[18:19]
	.loc	1 89 21                         ; fp8_utils_aot.py:89:21
	s_and_saveexec_b64 s[2:3], s[4:5]
	s_cbranch_execz .LBB0_538
.LBB0_554:
	.loc	1 87 48                         ; fp8_utils_aot.py:87:48
	v_lshl_add_u64 v[0:1], v[18:19], 1, v[2:3]
	.loc	1 89 21                         ; fp8_utils_aot.py:89:21
	global_store_short v[0:1], v37, off
	s_or_b64 exec, exec, s[2:3]
	.loc	1 88 39                         ; fp8_utils_aot.py:88:39
	s_and_b64 s[4:5], s[0:1], s[20:21]
	.loc	1 89 21                         ; fp8_utils_aot.py:89:21
	s_and_saveexec_b64 s[2:3], s[4:5]
	s_cbranch_execz .LBB0_539
.LBB0_555:
	.loc	1 87 48                         ; fp8_utils_aot.py:87:48
	v_lshl_add_u64 v[0:1], v[20:21], 1, v[2:3]
	.loc	1 89 21                         ; fp8_utils_aot.py:89:21
	global_store_short_d16_hi v[0:1], v37, off
	s_or_b64 exec, exec, s[2:3]
	.loc	1 88 39                         ; fp8_utils_aot.py:88:39
	s_and_b64 s[4:5], s[0:1], s[22:23]
	.loc	1 89 21                         ; fp8_utils_aot.py:89:21
	s_and_saveexec_b64 s[2:3], s[4:5]
	s_cbranch_execz .LBB0_540
.LBB0_556:
	.loc	1 87 48                         ; fp8_utils_aot.py:87:48
	v_lshl_add_u64 v[0:1], v[22:23], 1, v[2:3]
	.loc	1 89 21                         ; fp8_utils_aot.py:89:21
	global_store_short v[0:1], v36, off
	s_or_b64 exec, exec, s[2:3]
	.loc	1 88 39                         ; fp8_utils_aot.py:88:39
	s_and_b64 s[4:5], s[0:1], s[24:25]
	.loc	1 89 21                         ; fp8_utils_aot.py:89:21
	s_and_saveexec_b64 s[2:3], s[4:5]
	s_cbranch_execz .LBB0_541
.LBB0_557:
	.loc	1 87 48                         ; fp8_utils_aot.py:87:48
	v_lshl_add_u64 v[0:1], v[24:25], 1, v[2:3]
	.loc	1 89 21                         ; fp8_utils_aot.py:89:21
	global_store_short_d16_hi v[0:1], v36, off
	s_or_b64 exec, exec, s[2:3]
	.loc	1 88 39                         ; fp8_utils_aot.py:88:39
	s_and_b64 s[4:5], s[0:1], s[26:27]
	.loc	1 89 21                         ; fp8_utils_aot.py:89:21
	s_and_saveexec_b64 s[2:3], s[4:5]
	s_cbranch_execz .LBB0_542
.LBB0_558:
	.loc	1 87 48                         ; fp8_utils_aot.py:87:48
	v_lshl_add_u64 v[0:1], v[26:27], 1, v[2:3]
	.loc	1 89 21                         ; fp8_utils_aot.py:89:21
	global_store_short v[0:1], v35, off
	s_or_b64 exec, exec, s[2:3]
	.loc	1 88 39                         ; fp8_utils_aot.py:88:39
	s_and_b64 s[4:5], s[0:1], s[28:29]
	.loc	1 89 21                         ; fp8_utils_aot.py:89:21
	s_and_saveexec_b64 s[2:3], s[4:5]
	s_cbranch_execz .LBB0_543
.LBB0_559:
	.loc	1 87 48                         ; fp8_utils_aot.py:87:48
	v_lshl_add_u64 v[0:1], v[28:29], 1, v[2:3]
	.loc	1 89 21                         ; fp8_utils_aot.py:89:21
	global_store_short_d16_hi v[0:1], v35, off
	s_or_b64 exec, exec, s[2:3]
	.loc	1 88 39                         ; fp8_utils_aot.py:88:39
	s_and_b64 s[4:5], s[0:1], s[30:31]
	.loc	1 89 21                         ; fp8_utils_aot.py:89:21
	s_and_saveexec_b64 s[2:3], s[4:5]
	s_cbranch_execz .LBB0_544
.LBB0_560:
	.loc	1 87 48                         ; fp8_utils_aot.py:87:48
	v_lshl_add_u64 v[0:1], v[30:31], 1, v[2:3]
	.loc	1 89 21                         ; fp8_utils_aot.py:89:21
	global_store_short v[0:1], v34, off
	s_or_b64 exec, exec, s[2:3]
	.loc	1 88 39                         ; fp8_utils_aot.py:88:39
	s_and_b64 s[0:1], s[0:1], s[34:35]
	.loc	1 89 21                         ; fp8_utils_aot.py:89:21
	s_and_saveexec_b64 s[2:3], s[0:1]
	s_cbranch_execz .LBB0_545
.LBB0_561:
	.loc	1 87 48                         ; fp8_utils_aot.py:87:48
	v_lshl_add_u64 v[0:1], v[32:33], 1, v[2:3]
	.loc	1 89 21                         ; fp8_utils_aot.py:89:21
	global_store_short_d16_hi v[0:1], v34, off
	.loc	1 89 4 is_stmt 0                ; fp8_utils_aot.py:89:4
	s_endpgm
.Ltmp14:
	.section	.rodata,"a",@progbits
	.p2align	6, 0x0
	.amdhsa_kernel _w8a8_triton_block_scaled_mm
		.amdhsa_group_segment_fixed_size 0
		.amdhsa_private_segment_fixed_size 0
		.amdhsa_kernarg_size 120
		.amdhsa_user_sgpr_count 16
		.amdhsa_user_sgpr_dispatch_ptr 0
		.amdhsa_user_sgpr_queue_ptr 0
		.amdhsa_user_sgpr_kernarg_segment_ptr 1
		.amdhsa_user_sgpr_dispatch_id 0
		.amdhsa_user_sgpr_kernarg_preload_length 14
		.amdhsa_user_sgpr_kernarg_preload_offset 0
		.amdhsa_user_sgpr_private_segment_size 0
		.amdhsa_uses_dynamic_stack 0
		.amdhsa_enable_private_segment 0
		.amdhsa_system_sgpr_workgroup_id_x 1
		.amdhsa_system_sgpr_workgroup_id_y 0
		.amdhsa_system_sgpr_workgroup_id_z 0
		.amdhsa_system_sgpr_workgroup_info 0
		.amdhsa_system_vgpr_workitem_id 0
		.amdhsa_next_free_vgpr 466
		.amdhsa_next_free_sgpr 100
		.amdhsa_accum_offset 256
		.amdhsa_reserve_vcc 1
		.amdhsa_reserve_xnack_mask 1
		.amdhsa_float_round_mode_32 0
		.amdhsa_float_round_mode_16_64 0
		.amdhsa_float_denorm_mode_32 3
		.amdhsa_float_denorm_mode_16_64 3
		.amdhsa_dx10_clamp 1
		.amdhsa_ieee_mode 1
		.amdhsa_fp16_overflow 0
		.amdhsa_tg_split 0
		.amdhsa_exception_fp_ieee_invalid_op 0
		.amdhsa_exception_fp_denorm_src 0
		.amdhsa_exception_fp_ieee_div_zero 0
		.amdhsa_exception_fp_ieee_overflow 0
		.amdhsa_exception_fp_ieee_underflow 0
		.amdhsa_exception_fp_ieee_inexact 0
		.amdhsa_exception_int_div_zero 0
	.end_amdhsa_kernel
	.text
.Lfunc_end0:
	.size	_w8a8_triton_block_scaled_mm, .Lfunc_end0-_w8a8_triton_block_scaled_mm
	.cfi_endproc
                                        ; -- End function
	.set _w8a8_triton_block_scaled_mm.num_vgpr, 256
	.set _w8a8_triton_block_scaled_mm.num_agpr, 210
	.set _w8a8_triton_block_scaled_mm.numbered_sgpr, 100
	.set _w8a8_triton_block_scaled_mm.num_named_barrier, 0
	.set _w8a8_triton_block_scaled_mm.private_seg_size, 0
	.set _w8a8_triton_block_scaled_mm.uses_vcc, 1
	.set _w8a8_triton_block_scaled_mm.uses_flat_scratch, 0
	.set _w8a8_triton_block_scaled_mm.has_dyn_sized_stack, 0
	.set _w8a8_triton_block_scaled_mm.has_recursion, 0
	.set _w8a8_triton_block_scaled_mm.has_indirect_call, 0
	.section	.AMDGPU.csdata,"",@progbits
; Kernel info:
; codeLenInByte = 23616
; TotalNumSgprs: 106
; NumVgprs: 256
; NumAgprs: 210
; TotalNumVgprs: 466
; ScratchSize: 0
; MemoryBound: 0
; FloatMode: 240
; IeeeMode: 1
; LDSByteSize: 0 bytes/workgroup (compile time only)
; SGPRBlocks: 13
; VGPRBlocks: 58
; NumSGPRsForWavesPerEU: 106
; NumVGPRsForWavesPerEU: 466
; AccumOffset: 256
; Occupancy: 1
; WaveLimiterHint : 0
; COMPUTE_PGM_RSRC2:SCRATCH_EN: 0
; COMPUTE_PGM_RSRC2:USER_SGPR: 16
; COMPUTE_PGM_RSRC2:TRAP_HANDLER: 0
; COMPUTE_PGM_RSRC2:TGID_X_EN: 1
; COMPUTE_PGM_RSRC2:TGID_Y_EN: 0
; COMPUTE_PGM_RSRC2:TGID_Z_EN: 0
; COMPUTE_PGM_RSRC2:TIDIG_COMP_CNT: 0
; COMPUTE_PGM_RSRC3_GFX90A:ACCUM_OFFSET: 63
; COMPUTE_PGM_RSRC3_GFX90A:TG_SPLIT: 0
	.text
	.p2alignl 6, 3212836864
	.fill 256, 4, 3212836864
	.section	.AMDGPU.gpr_maximums,"",@progbits
	.set amdgpu.max_num_vgpr, 0
	.set amdgpu.max_num_agpr, 0
	.set amdgpu.max_num_sgpr, 0
	.set amdgpu.max_num_named_barrier, 0
	.text
	.section	.debug_abbrev,"",@progbits
	.byte	1                               ; Abbreviation Code
	.byte	17                              ; DW_TAG_compile_unit
	.byte	1                               ; DW_CHILDREN_yes
	.byte	37                              ; DW_AT_producer
	.byte	14                              ; DW_FORM_strp
	.byte	19                              ; DW_AT_language
	.byte	5                               ; DW_FORM_data2
	.byte	3                               ; DW_AT_name
	.byte	14                              ; DW_FORM_strp
	.byte	16                              ; DW_AT_stmt_list
	.byte	23                              ; DW_FORM_sec_offset
	.byte	27                              ; DW_AT_comp_dir
	.byte	14                              ; DW_FORM_strp
	.byte	17                              ; DW_AT_low_pc
	.byte	1                               ; DW_FORM_addr
	.byte	18                              ; DW_AT_high_pc
	.byte	6                               ; DW_FORM_data4
	.byte	0                               ; EOM(1)
	.byte	0                               ; EOM(2)
	.byte	2                               ; Abbreviation Code
	.byte	46                              ; DW_TAG_subprogram
	.byte	0                               ; DW_CHILDREN_no
	.byte	3                               ; DW_AT_name
	.byte	14                              ; DW_FORM_strp
	.byte	32                              ; DW_AT_inline
	.byte	11                              ; DW_FORM_data1
	.byte	0                               ; EOM(1)
	.byte	0                               ; EOM(2)
	.byte	3                               ; Abbreviation Code
	.byte	46                              ; DW_TAG_subprogram
	.byte	1                               ; DW_CHILDREN_yes
	.byte	17                              ; DW_AT_low_pc
	.byte	1                               ; DW_FORM_addr
	.byte	18                              ; DW_AT_high_pc
	.byte	6                               ; DW_FORM_data4
	.byte	49                              ; DW_AT_abstract_origin
	.byte	19                              ; DW_FORM_ref4
	.byte	0                               ; EOM(1)
	.byte	0                               ; EOM(2)
	.byte	4                               ; Abbreviation Code
	.byte	29                              ; DW_TAG_inlined_subroutine
	.byte	0                               ; DW_CHILDREN_no
	.byte	49                              ; DW_AT_abstract_origin
	.byte	19                              ; DW_FORM_ref4
	.byte	17                              ; DW_AT_low_pc
	.byte	1                               ; DW_FORM_addr
	.byte	18                              ; DW_AT_high_pc
	.byte	6                               ; DW_FORM_data4
	.byte	88                              ; DW_AT_call_file
	.byte	11                              ; DW_FORM_data1
	.byte	89                              ; DW_AT_call_line
	.byte	11                              ; DW_FORM_data1
	.byte	87                              ; DW_AT_call_column
	.byte	11                              ; DW_FORM_data1
	.byte	0                               ; EOM(1)
	.byte	0                               ; EOM(2)
	.byte	5                               ; Abbreviation Code
	.byte	29                              ; DW_TAG_inlined_subroutine
	.byte	0                               ; DW_CHILDREN_no
	.byte	49                              ; DW_AT_abstract_origin
	.byte	19                              ; DW_FORM_ref4
	.byte	85                              ; DW_AT_ranges
	.byte	23                              ; DW_FORM_sec_offset
	.byte	88                              ; DW_AT_call_file
	.byte	11                              ; DW_FORM_data1
	.byte	89                              ; DW_AT_call_line
	.byte	11                              ; DW_FORM_data1
	.byte	87                              ; DW_AT_call_column
	.byte	11                              ; DW_FORM_data1
	.byte	0                               ; EOM(1)
	.byte	0                               ; EOM(2)
	;; [unrolled: 1-line block ×3, first 2 shown]
	.section	.debug_info,"",@progbits
.Lcu_begin0:
	.long	.Ldebug_info_end0-.Ldebug_info_start0 ; Length of Unit
.Ldebug_info_start0:
	.short	4                               ; DWARF version number
	.long	.debug_abbrev                   ; Offset Into Abbrev. Section
	.byte	8                               ; Address Size (in bytes)
	.byte	1                               ; Abbrev [1] 0xb:0x64 DW_TAG_compile_unit
	.long	.Linfo_string0                  ; DW_AT_producer
	.short	2                               ; DW_AT_language
	.long	.Linfo_string1                  ; DW_AT_name
	.long	.Lline_table_start0             ; DW_AT_stmt_list
	.long	.Linfo_string2                  ; DW_AT_comp_dir
	.quad	.Lfunc_begin0                   ; DW_AT_low_pc
	.long	.Lfunc_end0-.Lfunc_begin0       ; DW_AT_high_pc
	.byte	2                               ; Abbrev [2] 0x2a:0x6 DW_TAG_subprogram
	.long	.Linfo_string3                  ; DW_AT_name
	.byte	1                               ; DW_AT_inline
	.byte	3                               ; Abbrev [3] 0x30:0x3e DW_TAG_subprogram
	.quad	.Lfunc_begin0                   ; DW_AT_low_pc
	.long	.Lfunc_end0-.Lfunc_begin0       ; DW_AT_high_pc
	.long	42                              ; DW_AT_abstract_origin
	.byte	4                               ; Abbrev [4] 0x41:0x14 DW_TAG_inlined_subroutine
	.long	42                              ; DW_AT_abstract_origin
	.quad	.Ltmp2                          ; DW_AT_low_pc
	.long	.Ltmp3-.Ltmp2                   ; DW_AT_high_pc
	.byte	1                               ; DW_AT_call_file
	.byte	46                              ; DW_AT_call_line
	.byte	27                              ; DW_AT_call_column
	.byte	5                               ; Abbrev [5] 0x55:0xc DW_TAG_inlined_subroutine
	.long	42                              ; DW_AT_abstract_origin
	.long	.Ldebug_ranges0                 ; DW_AT_ranges
	.byte	1                               ; DW_AT_call_file
	.byte	45                              ; DW_AT_call_line
	.byte	27                              ; DW_AT_call_column
	.byte	5                               ; Abbrev [5] 0x61:0xc DW_TAG_inlined_subroutine
	.long	42                              ; DW_AT_abstract_origin
	.long	.Ldebug_ranges1                 ; DW_AT_ranges
	.byte	1                               ; DW_AT_call_file
	.byte	65                              ; DW_AT_call_line
	.byte	33                              ; DW_AT_call_column
	.byte	0                               ; End Of Children Mark
	.byte	0                               ; End Of Children Mark
.Ldebug_info_end0:
	.section	.debug_ranges,"",@progbits
.Ldebug_ranges0:
	.quad	.Ltmp4-.Lfunc_begin0
	.quad	.Ltmp5-.Lfunc_begin0
	;; [unrolled: 1-line block ×6, first 2 shown]
	.quad	0
	.quad	0
.Ldebug_ranges1:
	.quad	.Ltmp10-.Lfunc_begin0
	.quad	.Ltmp11-.Lfunc_begin0
	;; [unrolled: 1-line block ×4, first 2 shown]
	.quad	0
	.quad	0
	.section	.debug_str,"MS",@progbits,1
.Linfo_string0:
	.asciz	"triton"                        ; string offset=0
.Linfo_string1:
	.asciz	"fp8_utils_aot.py"              ; string offset=7
.Linfo_string2:
	.asciz	"/root/src/amdgpu-assembly/repos/vllm-project__vllm/triton_aot_kernels" ; string offset=24
.Linfo_string3:
	.asciz	"_w8a8_triton_block_scaled_mm"  ; string offset=94
	.section	".note.GNU-stack","",@progbits
	.amdgpu_metadata
---
amdhsa.kernels:
  - .agpr_count:     210
    .args:
      - .address_space:  global
        .offset:         0
        .size:           8
        .value_kind:     global_buffer
      - .address_space:  global
        .offset:         8
        .size:           8
        .value_kind:     global_buffer
      - .address_space:  global
        .offset:         16
        .size:           8
        .value_kind:     global_buffer
      - .address_space:  global
        .offset:         24
        .size:           8
        .value_kind:     global_buffer
      - .address_space:  global
        .offset:         32
        .size:           8
        .value_kind:     global_buffer
      - .offset:         40
        .size:           4
        .value_kind:     by_value
      - .offset:         44
        .size:           4
        .value_kind:     by_value
      - .offset:         48
        .size:           4
        .value_kind:     by_value
      - .offset:         52
        .size:           4
        .value_kind:     by_value
      - .offset:         56
        .size:           4
        .value_kind:     by_value
      - .offset:         60
        .size:           4
        .value_kind:     by_value
      - .offset:         64
        .size:           4
        .value_kind:     by_value
      - .offset:         68
        .size:           4
        .value_kind:     by_value
      - .offset:         72
        .size:           4
        .value_kind:     by_value
      - .offset:         76
        .size:           4
        .value_kind:     by_value
      - .offset:         80
        .size:           4
        .value_kind:     by_value
      - .offset:         84
        .size:           4
        .value_kind:     by_value
      - .offset:         88
        .size:           4
        .value_kind:     by_value
      - .offset:         92
        .size:           4
        .value_kind:     by_value
      - .offset:         96
        .size:           4
        .value_kind:     by_value
      - .address_space:  global
        .offset:         104
        .size:           8
        .value_kind:     global_buffer
      - .address_space:  global
        .offset:         112
        .size:           8
        .value_kind:     global_buffer
    .group_segment_fixed_size: 0
    .kernarg_segment_align: 8
    .kernarg_segment_size: 120
    .max_flat_workgroup_size: 256
    .name:           _w8a8_triton_block_scaled_mm
    .private_segment_fixed_size: 0
    .sgpr_count:     106
    .sgpr_spill_count: 33
    .symbol:         _w8a8_triton_block_scaled_mm.kd
    .uniform_work_group_size: 1
    .uses_dynamic_stack: false
    .vgpr_count:     466
    .vgpr_spill_count: 0
    .wavefront_size: 64
amdhsa.target:   amdgcn-amd-amdhsa--gfx950
amdhsa.version:
  - 1
  - 2
...

	.end_amdgpu_metadata
	.section	.debug_line,"",@progbits
.Lline_table_start0:
